;; amdgpu-corpus repo=ROCm/rocFFT kind=compiled arch=gfx1030 opt=O3
	.text
	.amdgcn_target "amdgcn-amd-amdhsa--gfx1030"
	.amdhsa_code_object_version 6
	.protected	bluestein_single_fwd_len459_dim1_dp_op_CI_CI ; -- Begin function bluestein_single_fwd_len459_dim1_dp_op_CI_CI
	.globl	bluestein_single_fwd_len459_dim1_dp_op_CI_CI
	.p2align	8
	.type	bluestein_single_fwd_len459_dim1_dp_op_CI_CI,@function
bluestein_single_fwd_len459_dim1_dp_op_CI_CI: ; @bluestein_single_fwd_len459_dim1_dp_op_CI_CI
; %bb.0:
	s_mov_b64 s[58:59], s[2:3]
	s_mov_b64 s[56:57], s[0:1]
	s_load_dwordx4 s[0:3], s[4:5], 0x28
	v_mul_u32_u24_e32 v1, 0x506, v0
	s_add_u32 s56, s56, s7
	s_addc_u32 s57, s57, 0
	v_lshrrev_b32_e32 v1, 16, v1
	v_mad_u64_u32 v[124:125], null, s6, 5, v[1:2]
	v_mov_b32_e32 v125, 0
                                        ; kill: def $vgpr2 killed $sgpr0 killed $exec
	s_waitcnt lgkmcnt(0)
	v_cmp_gt_u64_e32 vcc_lo, s[0:1], v[124:125]
	s_and_saveexec_b32 s0, vcc_lo
	s_cbranch_execz .LBB0_15
; %bb.1:
	v_mul_hi_u32 v2, 0xcccccccd, v124
	s_clause 0x1
	s_load_dwordx2 s[12:13], s[4:5], 0x0
	s_load_dwordx2 s[14:15], s[4:5], 0x38
	v_mul_lo_u16 v1, v1, 51
	v_sub_nc_u16 v0, v0, v1
	v_lshrrev_b32_e32 v2, 2, v2
	v_and_b32_e32 v207, 0xffff, v0
	v_lshl_add_u32 v2, v2, 2, v2
	v_cmp_gt_u16_e32 vcc_lo, 27, v0
	v_sub_nc_u32_e32 v1, v124, v2
	v_mul_u32_u24_e32 v255, 0x1cb, v1
	v_lshlrev_b32_e32 v208, 4, v255
	s_and_saveexec_b32 s1, vcc_lo
	s_cbranch_execz .LBB0_3
; %bb.2:
	s_load_dwordx2 s[6:7], s[4:5], 0x18
	v_lshlrev_b32_e32 v151, 4, v207
	s_waitcnt lgkmcnt(0)
	v_add_co_u32 v24, s0, s12, v151
	v_add_co_ci_u32_e64 v25, null, s13, 0, s0
	v_add_co_u32 v38, s0, 0x800, v24
	v_add_co_ci_u32_e64 v39, s0, 0, v25, s0
	v_add_co_u32 v56, s0, 0x1000, v24
	v_add_co_ci_u32_e64 v57, s0, 0, v25, s0
	v_add_co_u32 v129, s0, 0x1800, v24
	s_load_dwordx4 s[8:11], s[6:7], 0x0
	v_add_co_ci_u32_e64 v130, s0, 0, v25, s0
	s_clause 0x4
	global_load_dwordx4 v[4:7], v151, s[12:13]
	global_load_dwordx4 v[0:3], v151, s[12:13] offset:432
	global_load_dwordx4 v[8:11], v151, s[12:13] offset:864
	;; [unrolled: 1-line block ×4, first 2 shown]
	s_waitcnt lgkmcnt(0)
	v_mad_u64_u32 v[36:37], null, s10, v124, 0
	v_mad_u64_u32 v[40:41], null, s8, v207, 0
	s_mul_i32 s6, s9, 0x1b0
	s_mul_hi_u32 s7, s8, 0x1b0
	s_add_i32 s7, s7, s6
	v_mov_b32_e32 v20, v37
	v_mov_b32_e32 v21, v41
	v_mad_u64_u32 v[22:23], null, s11, v124, v[20:21]
	v_mov_b32_e32 v37, v22
	v_mad_u64_u32 v[41:42], null, s9, v207, v[21:22]
	s_clause 0x3
	global_load_dwordx4 v[20:23], v[38:39], off offset:112
	global_load_dwordx4 v[24:27], v[38:39], off offset:544
	;; [unrolled: 1-line block ×4, first 2 shown]
	v_lshlrev_b64 v[42:43], 4, v[36:37]
	global_load_dwordx4 v[36:39], v[38:39], off offset:1840
	v_lshlrev_b64 v[40:41], 4, v[40:41]
	v_add_co_u32 v42, s0, s2, v42
	v_add_co_ci_u32_e64 v43, s0, s3, v43, s0
	s_mul_i32 s2, s8, 0x1b0
	v_add_co_u32 v60, s0, v42, v40
	v_add_co_ci_u32_e64 v61, s0, v43, v41, s0
	s_clause 0x1
	global_load_dwordx4 v[40:43], v[56:57], off offset:224
	global_load_dwordx4 v[44:47], v[56:57], off offset:656
	v_add_co_u32 v64, s0, v60, s2
	v_add_co_ci_u32_e64 v65, s0, s7, v61, s0
	s_clause 0x1
	global_load_dwordx4 v[48:51], v[56:57], off offset:1088
	global_load_dwordx4 v[52:55], v[56:57], off offset:1520
	v_add_co_u32 v68, s0, v64, s2
	v_add_co_ci_u32_e64 v69, s0, s7, v65, s0
	global_load_dwordx4 v[56:59], v[56:57], off offset:1952
	v_add_co_u32 v72, s0, v68, s2
	v_add_co_ci_u32_e64 v73, s0, s7, v69, s0
	s_clause 0x1
	global_load_dwordx4 v[60:63], v[60:61], off
	global_load_dwordx4 v[64:67], v[64:65], off
	v_add_co_u32 v76, s0, v72, s2
	v_add_co_ci_u32_e64 v77, s0, s7, v73, s0
	s_clause 0x1
	global_load_dwordx4 v[68:71], v[68:69], off
	global_load_dwordx4 v[72:75], v[72:73], off
	v_add_co_u32 v80, s0, v76, s2
	v_add_co_ci_u32_e64 v81, s0, s7, v77, s0
	global_load_dwordx4 v[76:79], v[76:77], off
	v_add_co_u32 v84, s0, v80, s2
	v_add_co_ci_u32_e64 v85, s0, s7, v81, s0
	;; [unrolled: 3-line block ×11, first 2 shown]
	v_add_co_u32 v133, s0, v120, s2
	v_add_co_ci_u32_e64 v134, s0, s7, v121, s0
	global_load_dwordx4 v[116:119], v[116:117], off
	global_load_dwordx4 v[120:123], v[120:121], off
	s_clause 0x1
	global_load_dwordx4 v[125:128], v[129:130], off offset:336
	global_load_dwordx4 v[129:132], v[129:130], off offset:768
	global_load_dwordx4 v[133:136], v[133:134], off
	s_waitcnt vmcnt(18)
	v_mul_f64 v[137:138], v[62:63], v[6:7]
	v_mul_f64 v[6:7], v[60:61], v[6:7]
	s_waitcnt vmcnt(17)
	v_mul_f64 v[139:140], v[66:67], v[2:3]
	v_mul_f64 v[141:142], v[64:65], v[2:3]
	s_waitcnt vmcnt(16)
	v_mul_f64 v[143:144], v[70:71], v[10:11]
	v_mul_f64 v[10:11], v[68:69], v[10:11]
	s_waitcnt vmcnt(15)
	v_mul_f64 v[145:146], v[74:75], v[14:15]
	v_mul_f64 v[14:15], v[72:73], v[14:15]
	s_waitcnt vmcnt(14)
	v_mul_f64 v[147:148], v[78:79], v[18:19]
	v_mul_f64 v[18:19], v[76:77], v[18:19]
	s_waitcnt vmcnt(13)
	v_mul_f64 v[149:150], v[82:83], v[22:23]
	v_mul_f64 v[22:23], v[80:81], v[22:23]
	v_fma_f64 v[2:3], v[60:61], v[4:5], v[137:138]
	v_fma_f64 v[4:5], v[62:63], v[4:5], -v[6:7]
	v_fma_f64 v[60:61], v[64:65], v[0:1], v[139:140]
	v_fma_f64 v[62:63], v[66:67], v[0:1], -v[141:142]
	s_waitcnt vmcnt(12)
	v_mul_f64 v[0:1], v[86:87], v[26:27]
	v_mul_f64 v[26:27], v[84:85], v[26:27]
	s_waitcnt vmcnt(11)
	v_mul_f64 v[64:65], v[90:91], v[30:31]
	v_mul_f64 v[30:31], v[88:89], v[30:31]
	v_fma_f64 v[6:7], v[68:69], v[8:9], v[143:144]
	s_waitcnt vmcnt(10)
	v_mul_f64 v[66:67], v[94:95], v[34:35]
	v_mul_f64 v[34:35], v[92:93], v[34:35]
	v_fma_f64 v[8:9], v[70:71], v[8:9], -v[10:11]
	v_fma_f64 v[10:11], v[72:73], v[12:13], v[145:146]
	v_fma_f64 v[12:13], v[74:75], v[12:13], -v[14:15]
	s_waitcnt vmcnt(9)
	v_mul_f64 v[68:69], v[98:99], v[38:39]
	v_mul_f64 v[38:39], v[96:97], v[38:39]
	v_fma_f64 v[14:15], v[76:77], v[16:17], v[147:148]
	v_fma_f64 v[16:17], v[78:79], v[16:17], -v[18:19]
	v_fma_f64 v[18:19], v[80:81], v[20:21], v[149:150]
	s_waitcnt vmcnt(8)
	v_mul_f64 v[70:71], v[102:103], v[42:43]
	v_mul_f64 v[42:43], v[100:101], v[42:43]
	v_fma_f64 v[20:21], v[82:83], v[20:21], -v[22:23]
	s_waitcnt vmcnt(7)
	v_mul_f64 v[72:73], v[106:107], v[46:47]
	v_mul_f64 v[46:47], v[104:105], v[46:47]
	v_fma_f64 v[22:23], v[84:85], v[24:25], v[0:1]
	v_fma_f64 v[24:25], v[86:87], v[24:25], -v[26:27]
	v_fma_f64 v[26:27], v[88:89], v[28:29], v[64:65]
	s_waitcnt vmcnt(6)
	v_mul_f64 v[74:75], v[110:111], v[50:51]
	v_mul_f64 v[50:51], v[108:109], v[50:51]
	v_fma_f64 v[28:29], v[90:91], v[28:29], -v[30:31]
	v_fma_f64 v[30:31], v[92:93], v[32:33], v[66:67]
	v_fma_f64 v[32:33], v[94:95], v[32:33], -v[34:35]
	s_waitcnt vmcnt(5)
	v_mul_f64 v[76:77], v[114:115], v[54:55]
	v_mul_f64 v[54:55], v[112:113], v[54:55]
	v_fma_f64 v[34:35], v[96:97], v[36:37], v[68:69]
	v_fma_f64 v[36:37], v[98:99], v[36:37], -v[38:39]
	v_lshl_add_u32 v0, v207, 4, v208
	v_add_nc_u32_e32 v1, v208, v151
	s_waitcnt vmcnt(4)
	v_mul_f64 v[78:79], v[118:119], v[58:59]
	v_mul_f64 v[58:59], v[116:117], v[58:59]
	s_waitcnt vmcnt(2)
	v_mul_f64 v[80:81], v[122:123], v[127:128]
	v_mul_f64 v[82:83], v[120:121], v[127:128]
	;; [unrolled: 3-line block ×3, first 2 shown]
	v_fma_f64 v[38:39], v[100:101], v[40:41], v[70:71]
	v_fma_f64 v[40:41], v[102:103], v[40:41], -v[42:43]
	v_fma_f64 v[42:43], v[104:105], v[44:45], v[72:73]
	v_fma_f64 v[44:45], v[106:107], v[44:45], -v[46:47]
	;; [unrolled: 2-line block ×7, first 2 shown]
	ds_write_b128 v0, v[2:5]
	ds_write_b128 v1, v[60:63] offset:432
	ds_write_b128 v1, v[6:9] offset:864
	;; [unrolled: 1-line block ×16, first 2 shown]
.LBB0_3:
	s_or_b32 exec_lo, exec_lo, s1
	s_clause 0x1
	s_load_dwordx2 s[2:3], s[4:5], 0x20
	s_load_dwordx2 s[0:1], s[4:5], 0x8
	s_waitcnt lgkmcnt(0)
	s_barrier
	buffer_gl0_inv
                                        ; implicit-def: $vgpr36_vgpr37
                                        ; implicit-def: $vgpr52_vgpr53
                                        ; implicit-def: $vgpr56_vgpr57
                                        ; implicit-def: $vgpr60_vgpr61
                                        ; implicit-def: $vgpr68_vgpr69
                                        ; implicit-def: $vgpr72_vgpr73
                                        ; implicit-def: $vgpr76_vgpr77
                                        ; implicit-def: $vgpr80_vgpr81
                                        ; implicit-def: $vgpr84_vgpr85
                                        ; implicit-def: $vgpr88_vgpr89
                                        ; implicit-def: $vgpr92_vgpr93
                                        ; implicit-def: $vgpr96_vgpr97
                                        ; implicit-def: $vgpr64_vgpr65
                                        ; implicit-def: $vgpr48_vgpr49
                                        ; implicit-def: $vgpr44_vgpr45
                                        ; implicit-def: $vgpr40_vgpr41
                                        ; implicit-def: $vgpr32_vgpr33
	s_and_saveexec_b32 s4, vcc_lo
	s_cbranch_execz .LBB0_5
; %bb.4:
	v_lshlrev_b32_e32 v0, 4, v207
	v_lshl_add_u32 v0, v255, 4, v0
	ds_read_b128 v[36:39], v0
	ds_read_b128 v[52:55], v0 offset:432
	ds_read_b128 v[56:59], v0 offset:864
	;; [unrolled: 1-line block ×16, first 2 shown]
.LBB0_5:
	s_or_b32 exec_lo, exec_lo, s4
	s_waitcnt lgkmcnt(0)
	v_add_f64 v[30:31], v[54:55], -v[34:35]
	v_add_f64 v[28:29], v[52:53], -v[32:33]
	s_mov_b32 s24, 0x5d8e7cdc
	s_mov_b32 s25, 0xbfd71e95
	v_add_f64 v[122:123], v[58:59], -v[42:43]
	v_add_f64 v[106:107], v[56:57], -v[40:41]
	s_mov_b32 s26, 0x2a9d6da3
	s_mov_b32 s27, 0xbfe58eea
	;; [unrolled: 4-line block ×3, first 2 shown]
	v_add_f64 v[108:109], v[52:53], v[32:33]
	v_add_f64 v[110:111], v[54:55], v[34:35]
	s_mov_b32 s4, 0x370991
	s_mov_b32 s5, 0x3fedd6d0
	v_add_f64 v[100:101], v[56:57], v[40:41]
	v_add_f64 v[104:105], v[58:59], v[42:43]
	s_mov_b32 s6, 0x75d4884
	s_mov_b32 s7, 0x3fe7a5f6
	v_add_f64 v[116:117], v[62:63], v[46:47]
	s_mov_b32 s8, 0x2b2883cd
	v_mul_f64 v[0:1], v[30:31], s[24:25]
	v_mul_f64 v[2:3], v[28:29], s[24:25]
	s_mov_b32 s9, 0x3fdc86fa
	v_add_f64 v[235:236], v[70:71], -v[50:51]
	v_mul_f64 v[4:5], v[122:123], s[26:27]
	v_mul_f64 v[6:7], v[106:107], s[26:27]
	v_add_f64 v[239:240], v[68:69], -v[48:49]
	s_mov_b32 s28, 0xeb564b22
	v_mul_f64 v[8:9], v[229:230], s[30:31]
	v_mul_f64 v[10:11], v[233:234], s[30:31]
	s_mov_b32 s29, 0xbfefdd0d
	v_add_f64 v[129:130], v[70:71], v[50:51]
	s_mov_b32 s10, 0x3259b75e
	s_mov_b32 s11, 0x3fb79ee6
	v_add_f64 v[243:244], v[74:75], -v[66:67]
	s_mov_b32 s34, 0x923c349f
	s_mov_b32 s35, 0xbfeec746
	v_add_f64 v[112:113], v[60:61], v[44:45]
	v_add_f64 v[125:126], v[68:69], v[48:49]
	;; [unrolled: 1-line block ×3, first 2 shown]
	s_mov_b32 s18, 0xc61f0d01
	s_mov_b32 s19, 0xbfd183b1
	buffer_store_dword v0, off, s[56:59], 0 offset:40 ; 4-byte Folded Spill
	buffer_store_dword v1, off, s[56:59], 0 offset:44 ; 4-byte Folded Spill
	;; [unrolled: 1-line block ×12, first 2 shown]
	v_mul_f64 v[12:13], v[235:236], s[28:29]
	buffer_store_dword v12, off, s[56:59], 0 offset:56 ; 4-byte Folded Spill
	buffer_store_dword v13, off, s[56:59], 0 offset:60 ; 4-byte Folded Spill
	v_add_f64 v[245:246], v[72:73], -v[64:65]
	v_add_f64 v[163:164], v[74:75], v[66:67]
	v_add_f64 v[247:248], v[78:79], -v[98:99]
	s_mov_b32 s36, 0x6c9a05f6
	s_mov_b32 s37, 0xbfe9895b
	v_add_f64 v[139:140], v[76:77], v[96:97]
	s_mov_b32 s16, 0x6ed5f1bb
	s_mov_b32 s17, 0xbfe348c8
	v_add_f64 v[249:250], v[76:77], -v[96:97]
	v_add_f64 v[147:148], v[78:79], v[98:99]
	v_add_f64 v[253:254], v[82:83], -v[94:95]
	s_mov_b32 s38, 0x4363dd80
	s_mov_b32 s39, 0xbfe0d888
	v_add_f64 v[135:136], v[80:81], v[92:93]
	s_mov_b32 s20, 0x910ea3b9
	s_mov_b32 s21, 0xbfeb34fa
	;; [unrolled: 8-line block ×3, first 2 shown]
	v_add_f64 v[133:134], v[84:85], -v[88:89]
	v_add_f64 v[159:160], v[86:87], v[90:91]
	v_mul_f64 v[145:146], v[30:31], s[26:27]
	v_mul_f64 v[149:150], v[28:29], s[26:27]
	s_mov_b32 s51, 0x3fe0d888
	s_mov_b32 s50, s38
	;; [unrolled: 1-line block ×8, first 2 shown]
	v_mul_f64 v[175:176], v[30:31], s[30:31]
	v_mul_f64 v[181:182], v[28:29], s[30:31]
	s_mov_b32 s47, 0x3fc7851a
	s_mov_b32 s46, s40
	v_mul_f64 v[14:15], v[122:123], s[40:41]
	v_mul_f64 v[16:17], v[106:107], s[40:41]
	;; [unrolled: 1-line block ×4, first 2 shown]
	s_mov_b32 s53, 0x3fe9895b
	s_mov_b32 s52, s36
	v_mul_f64 v[18:19], v[122:123], s[50:51]
	v_mul_f64 v[20:21], v[106:107], s[50:51]
	;; [unrolled: 1-line block ×28, first 2 shown]
	v_fma_f64 v[22:23], v[100:101], s[18:19], v[153:154]
	v_mul_f64 v[213:214], v[245:246], s[24:25]
	v_fma_f64 v[24:25], v[104:105], s[18:19], -v[165:166]
	v_mul_f64 v[137:138], v[247:248], s[40:41]
	v_mul_f64 v[217:218], v[249:250], s[40:41]
	;; [unrolled: 1-line block ×7, first 2 shown]
	v_fma_f64 v[26:27], v[100:101], s[8:9], v[191:192]
	v_fma_f64 v[120:121], v[104:105], s[8:9], -v[199:200]
	v_fma_f64 v[0:1], v[108:109], s[4:5], v[0:1]
	v_fma_f64 v[2:3], v[110:111], s[4:5], -v[2:3]
	;; [unrolled: 2-line block ×3, first 2 shown]
	v_fma_f64 v[8:9], v[112:113], s[8:9], v[8:9]
	v_add_f64 v[0:1], v[36:37], v[0:1]
	v_add_f64 v[2:3], v[38:39], v[2:3]
	;; [unrolled: 1-line block ×3, first 2 shown]
	v_fma_f64 v[4:5], v[116:117], s[8:9], -v[10:11]
	v_add_f64 v[2:3], v[6:7], v[2:3]
	v_fma_f64 v[6:7], v[125:126], s[10:11], v[12:13]
	v_mul_f64 v[10:11], v[122:123], s[36:37]
	v_mul_f64 v[12:13], v[106:107], s[36:37]
	v_add_f64 v[0:1], v[8:9], v[0:1]
	v_mul_f64 v[8:9], v[106:107], s[28:29]
	v_add_f64 v[2:3], v[4:5], v[2:3]
	v_mul_f64 v[4:5], v[239:240], s[28:29]
	v_fma_f64 v[106:107], v[104:105], s[4:5], -v[231:232]
	buffer_store_dword v4, off, s[56:59], 0 offset:64 ; 4-byte Folded Spill
	buffer_store_dword v5, off, s[56:59], 0 offset:68 ; 4-byte Folded Spill
	v_add_f64 v[0:1], v[6:7], v[0:1]
	v_mul_f64 v[6:7], v[122:123], s[28:29]
	v_fma_f64 v[122:123], v[100:101], s[4:5], v[225:226]
	v_fma_f64 v[4:5], v[129:130], s[10:11], -v[4:5]
	v_add_f64 v[2:3], v[4:5], v[2:3]
	v_mul_f64 v[4:5], v[243:244], s[34:35]
	buffer_store_dword v4, off, s[56:59], 0 offset:104 ; 4-byte Folded Spill
	buffer_store_dword v5, off, s[56:59], 0 offset:108 ; 4-byte Folded Spill
	v_fma_f64 v[4:5], v[151:152], s[18:19], v[4:5]
	v_add_f64 v[0:1], v[4:5], v[0:1]
	v_mul_f64 v[4:5], v[245:246], s[34:35]
	buffer_store_dword v4, off, s[56:59], 0 offset:128 ; 4-byte Folded Spill
	buffer_store_dword v5, off, s[56:59], 0 offset:132 ; 4-byte Folded Spill
	v_fma_f64 v[4:5], v[163:164], s[18:19], -v[4:5]
	v_add_f64 v[2:3], v[4:5], v[2:3]
	v_mul_f64 v[4:5], v[247:248], s[36:37]
	buffer_store_dword v4, off, s[56:59], 0 offset:80 ; 4-byte Folded Spill
	buffer_store_dword v5, off, s[56:59], 0 offset:84 ; 4-byte Folded Spill
	v_fma_f64 v[4:5], v[139:140], s[16:17], v[4:5]
	v_add_f64 v[0:1], v[4:5], v[0:1]
	v_mul_f64 v[4:5], v[249:250], s[36:37]
	buffer_store_dword v4, off, s[56:59], 0 offset:96 ; 4-byte Folded Spill
	buffer_store_dword v5, off, s[56:59], 0 offset:100 ; 4-byte Folded Spill
	;; [unrolled: 10-line block ×4, first 2 shown]
	buffer_store_dword v6, off, s[56:59], 0 offset:264 ; 4-byte Folded Spill
	buffer_store_dword v7, off, s[56:59], 0 offset:268 ; 4-byte Folded Spill
	;; [unrolled: 1-line block ×4, first 2 shown]
	v_fma_f64 v[4:5], v[159:160], s[22:23], -v[4:5]
	v_fma_f64 v[6:7], v[100:101], s[10:11], v[6:7]
	v_fma_f64 v[8:9], v[104:105], s[10:11], -v[8:9]
	v_add_f64 v[2:3], v[4:5], v[2:3]
	v_fma_f64 v[4:5], v[108:109], s[6:7], v[145:146]
	v_add_f64 v[4:5], v[36:37], v[4:5]
	v_add_f64 v[4:5], v[6:7], v[4:5]
	v_fma_f64 v[6:7], v[110:111], s[6:7], -v[149:150]
	v_add_f64 v[6:7], v[38:39], v[6:7]
	v_add_f64 v[6:7], v[8:9], v[6:7]
	v_mul_f64 v[8:9], v[229:230], s[36:37]
	buffer_store_dword v8, off, s[56:59], 0 offset:272 ; 4-byte Folded Spill
	buffer_store_dword v9, off, s[56:59], 0 offset:276 ; 4-byte Folded Spill
	v_fma_f64 v[8:9], v[112:113], s[16:17], v[8:9]
	v_add_f64 v[4:5], v[8:9], v[4:5]
	v_mul_f64 v[8:9], v[233:234], s[36:37]
	buffer_store_dword v8, off, s[56:59], 0 offset:296 ; 4-byte Folded Spill
	buffer_store_dword v9, off, s[56:59], 0 offset:300 ; 4-byte Folded Spill
	v_fma_f64 v[8:9], v[116:117], s[16:17], -v[8:9]
	v_add_f64 v[6:7], v[8:9], v[6:7]
	v_mul_f64 v[8:9], v[235:236], s[40:41]
	buffer_store_dword v8, off, s[56:59], 0 offset:248 ; 4-byte Folded Spill
	buffer_store_dword v9, off, s[56:59], 0 offset:252 ; 4-byte Folded Spill
	v_fma_f64 v[8:9], v[125:126], s[22:23], v[8:9]
	v_add_f64 v[4:5], v[8:9], v[4:5]
	v_mul_f64 v[8:9], v[239:240], s[40:41]
	buffer_store_dword v8, off, s[56:59], 0 offset:288 ; 4-byte Folded Spill
	buffer_store_dword v9, off, s[56:59], 0 offset:292 ; 4-byte Folded Spill
	v_fma_f64 v[8:9], v[129:130], s[22:23], -v[8:9]
	;; [unrolled: 10-line block ×5, first 2 shown]
	v_add_f64 v[6:7], v[8:9], v[6:7]
	v_mul_f64 v[8:9], v[131:132], s[44:45]
	buffer_store_dword v8, off, s[56:59], 0 offset:136 ; 4-byte Folded Spill
	buffer_store_dword v9, off, s[56:59], 0 offset:140 ; 4-byte Folded Spill
	v_fma_f64 v[8:9], v[155:156], s[4:5], v[8:9]
	v_add_f64 v[4:5], v[8:9], v[4:5]
	v_mul_f64 v[8:9], v[133:134], s[44:45]
	buffer_store_dword v8, off, s[56:59], 0 offset:144 ; 4-byte Folded Spill
	buffer_store_dword v9, off, s[56:59], 0 offset:148 ; 4-byte Folded Spill
	;; [unrolled: 1-line block ×6, first 2 shown]
	v_fma_f64 v[8:9], v[159:160], s[4:5], -v[8:9]
	v_fma_f64 v[10:11], v[100:101], s[16:17], v[10:11]
	v_fma_f64 v[12:13], v[104:105], s[16:17], -v[12:13]
	v_add_f64 v[6:7], v[8:9], v[6:7]
	v_fma_f64 v[8:9], v[108:109], s[8:9], v[175:176]
	v_add_f64 v[8:9], v[36:37], v[8:9]
	v_add_f64 v[8:9], v[10:11], v[8:9]
	v_fma_f64 v[10:11], v[110:111], s[8:9], -v[181:182]
	v_add_f64 v[10:11], v[38:39], v[10:11]
	v_add_f64 v[10:11], v[12:13], v[10:11]
	v_mul_f64 v[12:13], v[229:230], s[46:47]
	buffer_store_dword v12, off, s[56:59], 0 offset:384 ; 4-byte Folded Spill
	buffer_store_dword v13, off, s[56:59], 0 offset:388 ; 4-byte Folded Spill
	v_fma_f64 v[12:13], v[112:113], s[22:23], v[12:13]
	v_add_f64 v[8:9], v[12:13], v[8:9]
	v_mul_f64 v[12:13], v[233:234], s[46:47]
	buffer_store_dword v12, off, s[56:59], 0 offset:416 ; 4-byte Folded Spill
	buffer_store_dword v13, off, s[56:59], 0 offset:420 ; 4-byte Folded Spill
	s_mov_b32 s47, 0x3fe58eea
	s_mov_b32 s46, s26
	v_mul_f64 v[211:212], v[253:254], s[46:47]
	v_mul_f64 v[219:220], v[127:128], s[46:47]
	;; [unrolled: 1-line block ×3, first 2 shown]
	v_fma_f64 v[12:13], v[116:117], s[22:23], -v[12:13]
	v_add_f64 v[10:11], v[12:13], v[10:11]
	v_mul_f64 v[12:13], v[235:236], s[48:49]
	buffer_store_dword v12, off, s[56:59], 0 offset:368 ; 4-byte Folded Spill
	buffer_store_dword v13, off, s[56:59], 0 offset:372 ; 4-byte Folded Spill
	v_fma_f64 v[12:13], v[125:126], s[18:19], v[12:13]
	v_add_f64 v[8:9], v[12:13], v[8:9]
	v_mul_f64 v[12:13], v[239:240], s[48:49]
	buffer_store_dword v12, off, s[56:59], 0 offset:424 ; 4-byte Folded Spill
	buffer_store_dword v13, off, s[56:59], 0 offset:428 ; 4-byte Folded Spill
	v_fma_f64 v[12:13], v[129:130], s[18:19], -v[12:13]
	v_add_f64 v[10:11], v[12:13], v[10:11]
	v_mul_f64 v[12:13], v[243:244], s[46:47]
	buffer_store_dword v12, off, s[56:59], 0 offset:360 ; 4-byte Folded Spill
	buffer_store_dword v13, off, s[56:59], 0 offset:364 ; 4-byte Folded Spill
	v_fma_f64 v[12:13], v[151:152], s[6:7], v[12:13]
	v_add_f64 v[8:9], v[12:13], v[8:9]
	v_mul_f64 v[12:13], v[245:246], s[46:47]
	buffer_store_dword v12, off, s[56:59], 0 offset:440 ; 4-byte Folded Spill
	buffer_store_dword v13, off, s[56:59], 0 offset:444 ; 4-byte Folded Spill
	;; [unrolled: 10-line block ×5, first 2 shown]
	buffer_store_dword v14, off, s[56:59], 0 offset:456 ; 4-byte Folded Spill
	buffer_store_dword v15, off, s[56:59], 0 offset:460 ; 4-byte Folded Spill
	;; [unrolled: 1-line block ×4, first 2 shown]
	v_fma_f64 v[12:13], v[159:160], s[20:21], -v[12:13]
	v_fma_f64 v[14:15], v[100:101], s[22:23], v[14:15]
	v_fma_f64 v[16:17], v[104:105], s[22:23], -v[16:17]
	v_add_f64 v[10:11], v[12:13], v[10:11]
	v_fma_f64 v[12:13], v[108:109], s[10:11], v[197:198]
	v_add_f64 v[12:13], v[36:37], v[12:13]
	v_add_f64 v[12:13], v[14:15], v[12:13]
	v_fma_f64 v[14:15], v[110:111], s[10:11], -v[203:204]
	v_add_f64 v[14:15], v[38:39], v[14:15]
	v_add_f64 v[14:15], v[16:17], v[14:15]
	v_mul_f64 v[16:17], v[229:230], s[48:49]
	buffer_store_dword v16, off, s[56:59], 0 offset:464 ; 4-byte Folded Spill
	buffer_store_dword v17, off, s[56:59], 0 offset:468 ; 4-byte Folded Spill
	v_fma_f64 v[16:17], v[112:113], s[18:19], v[16:17]
	v_add_f64 v[12:13], v[16:17], v[12:13]
	v_mul_f64 v[16:17], v[233:234], s[48:49]
	buffer_store_dword v16, off, s[56:59], 0 offset:488 ; 4-byte Folded Spill
	buffer_store_dword v17, off, s[56:59], 0 offset:492 ; 4-byte Folded Spill
	v_fma_f64 v[16:17], v[116:117], s[18:19], -v[16:17]
	v_add_f64 v[14:15], v[16:17], v[14:15]
	v_mul_f64 v[16:17], v[235:236], s[44:45]
	buffer_store_dword v16, off, s[56:59], 0 offset:480 ; 4-byte Folded Spill
	buffer_store_dword v17, off, s[56:59], 0 offset:484 ; 4-byte Folded Spill
	v_fma_f64 v[16:17], v[125:126], s[4:5], v[16:17]
	v_add_f64 v[12:13], v[16:17], v[12:13]
	v_mul_f64 v[16:17], v[239:240], s[44:45]
	buffer_store_dword v16, off, s[56:59], 0 offset:504 ; 4-byte Folded Spill
	buffer_store_dword v17, off, s[56:59], 0 offset:508 ; 4-byte Folded Spill
	v_fma_f64 v[16:17], v[129:130], s[4:5], -v[16:17]
	;; [unrolled: 10-line block ×5, first 2 shown]
	v_add_f64 v[14:15], v[16:17], v[14:15]
	v_mul_f64 v[16:17], v[131:132], s[46:47]
	buffer_store_dword v16, off, s[56:59], 0 offset:240 ; 4-byte Folded Spill
	buffer_store_dword v17, off, s[56:59], 0 offset:244 ; 4-byte Folded Spill
	v_fma_f64 v[16:17], v[155:156], s[6:7], v[16:17]
	v_add_f64 v[12:13], v[16:17], v[12:13]
	v_mul_f64 v[16:17], v[133:134], s[46:47]
	buffer_store_dword v16, off, s[56:59], 0 offset:256 ; 4-byte Folded Spill
	buffer_store_dword v17, off, s[56:59], 0 offset:260 ; 4-byte Folded Spill
	buffer_store_dword v18, off, s[56:59], 0 offset:520 ; 4-byte Folded Spill
	buffer_store_dword v19, off, s[56:59], 0 offset:524 ; 4-byte Folded Spill
	buffer_store_dword v20, off, s[56:59], 0 offset:536 ; 4-byte Folded Spill
	buffer_store_dword v21, off, s[56:59], 0 offset:540 ; 4-byte Folded Spill
	v_fma_f64 v[16:17], v[159:160], s[6:7], -v[16:17]
	v_fma_f64 v[18:19], v[100:101], s[20:21], v[18:19]
	v_fma_f64 v[20:21], v[104:105], s[20:21], -v[20:21]
	v_add_f64 v[14:15], v[16:17], v[14:15]
	v_fma_f64 v[16:17], v[108:109], s[18:19], v[223:224]
	v_add_f64 v[16:17], v[36:37], v[16:17]
	v_add_f64 v[16:17], v[18:19], v[16:17]
	v_fma_f64 v[18:19], v[110:111], s[18:19], -v[227:228]
	v_add_f64 v[18:19], v[38:39], v[18:19]
	v_add_f64 v[18:19], v[20:21], v[18:19]
	v_mul_f64 v[20:21], v[229:230], s[46:47]
	buffer_store_dword v20, off, s[56:59], 0 offset:528 ; 4-byte Folded Spill
	buffer_store_dword v21, off, s[56:59], 0 offset:532 ; 4-byte Folded Spill
	v_mul_f64 v[229:230], v[229:230], s[38:39]
	v_fma_f64 v[20:21], v[112:113], s[6:7], v[20:21]
	v_add_f64 v[16:17], v[20:21], v[16:17]
	v_mul_f64 v[20:21], v[233:234], s[46:47]
	buffer_store_dword v20, off, s[56:59], 0 offset:552 ; 4-byte Folded Spill
	buffer_store_dword v21, off, s[56:59], 0 offset:556 ; 4-byte Folded Spill
	v_mul_f64 v[233:234], v[235:236], s[46:47]
	v_fma_f64 v[20:21], v[116:117], s[6:7], -v[20:21]
	v_add_f64 v[18:19], v[20:21], v[18:19]
	v_mul_f64 v[20:21], v[235:236], s[30:31]
	buffer_store_dword v20, off, s[56:59], 0 offset:544 ; 4-byte Folded Spill
	buffer_store_dword v21, off, s[56:59], 0 offset:548 ; 4-byte Folded Spill
	v_mul_f64 v[235:236], v[243:244], s[36:37]
	v_fma_f64 v[20:21], v[125:126], s[8:9], v[20:21]
	v_add_f64 v[16:17], v[20:21], v[16:17]
	v_mul_f64 v[20:21], v[239:240], s[30:31]
	buffer_store_dword v20, off, s[56:59], 0 offset:568 ; 4-byte Folded Spill
	buffer_store_dword v21, off, s[56:59], 0 offset:572 ; 4-byte Folded Spill
	s_mov_b32 s31, 0x3fefdd0d
	s_mov_b32 s30, s28
	v_mul_f64 v[239:240], v[247:248], s[42:43]
	v_mul_f64 v[167:168], v[243:244], s[30:31]
	;; [unrolled: 1-line block ×4, first 2 shown]
	v_fma_f64 v[20:21], v[129:130], s[8:9], -v[20:21]
	v_add_f64 v[18:19], v[20:21], v[18:19]
	v_mul_f64 v[20:21], v[243:244], s[40:41]
	buffer_store_dword v20, off, s[56:59], 0 offset:560 ; 4-byte Folded Spill
	buffer_store_dword v21, off, s[56:59], 0 offset:564 ; 4-byte Folded Spill
	v_mul_f64 v[243:244], v[253:254], s[34:35]
	v_fma_f64 v[20:21], v[151:152], s[22:23], v[20:21]
	v_add_f64 v[16:17], v[20:21], v[16:17]
	v_fma_f64 v[20:21], v[163:164], s[22:23], -v[141:142]
	v_add_f64 v[18:19], v[20:21], v[18:19]
	v_mul_f64 v[20:21], v[247:248], s[30:31]
	buffer_store_dword v20, off, s[56:59], 0 offset:432 ; 4-byte Folded Spill
	buffer_store_dword v21, off, s[56:59], 0 offset:436 ; 4-byte Folded Spill
	v_mul_f64 v[247:248], v[131:132], s[30:31]
	v_fma_f64 v[20:21], v[139:140], s[10:11], v[20:21]
	v_add_f64 v[16:17], v[20:21], v[16:17]
	v_mul_f64 v[20:21], v[249:250], s[30:31]
	buffer_store_dword v20, off, s[56:59], 0 offset:448 ; 4-byte Folded Spill
	buffer_store_dword v21, off, s[56:59], 0 offset:452 ; 4-byte Folded Spill
	v_mul_f64 v[249:250], v[249:250], s[42:43]
	v_fma_f64 v[20:21], v[147:148], s[10:11], -v[20:21]
	v_add_f64 v[18:19], v[20:21], v[18:19]
	v_mul_f64 v[20:21], v[253:254], s[24:25]
	buffer_store_dword v20, off, s[56:59], 0 offset:392 ; 4-byte Folded Spill
	buffer_store_dword v21, off, s[56:59], 0 offset:396 ; 4-byte Folded Spill
	v_mul_f64 v[253:254], v[127:128], s[34:35]
	v_fma_f64 v[20:21], v[135:136], s[4:5], v[20:21]
	v_add_f64 v[16:17], v[20:21], v[16:17]
	v_mul_f64 v[20:21], v[127:128], s[24:25]
	buffer_store_dword v20, off, s[56:59], 0 offset:400 ; 4-byte Folded Spill
	buffer_store_dword v21, off, s[56:59], 0 offset:404 ; 4-byte Folded Spill
	v_fma_f64 v[20:21], v[143:144], s[4:5], -v[20:21]
	v_add_f64 v[18:19], v[20:21], v[18:19]
	v_mul_f64 v[20:21], v[131:132], s[36:37]
	buffer_store_dword v20, off, s[56:59], 0 offset:344 ; 4-byte Folded Spill
	buffer_store_dword v21, off, s[56:59], 0 offset:348 ; 4-byte Folded Spill
	v_fma_f64 v[20:21], v[155:156], s[16:17], v[20:21]
	v_add_f64 v[16:17], v[20:21], v[16:17]
	v_mul_f64 v[20:21], v[133:134], s[36:37]
	buffer_store_dword v20, off, s[56:59], 0 offset:352 ; 4-byte Folded Spill
	buffer_store_dword v21, off, s[56:59], 0 offset:356 ; 4-byte Folded Spill
	s_waitcnt_vscnt null, 0x0
	s_barrier
	buffer_gl0_inv
	buffer_store_dword v207, off, s[56:59], 0 ; 4-byte Folded Spill
	v_fma_f64 v[20:21], v[159:160], s[16:17], -v[20:21]
	v_add_f64 v[18:19], v[20:21], v[18:19]
	v_fma_f64 v[20:21], v[108:109], s[16:17], v[251:252]
	v_add_f64 v[20:21], v[36:37], v[20:21]
	v_add_f64 v[20:21], v[22:23], v[20:21]
	v_fma_f64 v[22:23], v[110:111], s[16:17], -v[102:103]
	v_add_f64 v[22:23], v[38:39], v[22:23]
	v_add_f64 v[22:23], v[24:25], v[22:23]
	v_fma_f64 v[24:25], v[112:113], s[4:5], v[157:158]
	v_add_f64 v[20:21], v[24:25], v[20:21]
	v_fma_f64 v[24:25], v[116:117], s[4:5], -v[169:170]
	v_add_f64 v[22:23], v[24:25], v[22:23]
	v_fma_f64 v[24:25], v[125:126], s[20:21], v[161:162]
	v_add_f64 v[20:21], v[24:25], v[20:21]
	v_fma_f64 v[24:25], v[129:130], s[20:21], -v[173:174]
	;; [unrolled: 4-line block ×6, first 2 shown]
	v_add_f64 v[22:23], v[24:25], v[22:23]
	v_fma_f64 v[24:25], v[108:109], s[20:21], v[114:115]
	v_add_f64 v[24:25], v[36:37], v[24:25]
	v_add_f64 v[24:25], v[26:27], v[24:25]
	v_fma_f64 v[26:27], v[110:111], s[20:21], -v[118:119]
	v_add_f64 v[26:27], v[38:39], v[26:27]
	v_add_f64 v[26:27], v[120:121], v[26:27]
	v_fma_f64 v[120:121], v[112:113], s[10:11], v[193:194]
	v_add_f64 v[24:25], v[120:121], v[24:25]
	v_fma_f64 v[120:121], v[116:117], s[10:11], -v[205:206]
	v_add_f64 v[26:27], v[120:121], v[26:27]
	v_fma_f64 v[120:121], v[125:126], s[16:17], v[195:196]
	v_add_f64 v[24:25], v[120:121], v[24:25]
	v_fma_f64 v[120:121], v[129:130], s[16:17], -v[209:210]
	v_add_f64 v[26:27], v[120:121], v[26:27]
	v_fma_f64 v[120:121], v[151:152], s[4:5], v[201:202]
	v_add_f64 v[24:25], v[120:121], v[24:25]
	v_fma_f64 v[120:121], v[163:164], s[4:5], -v[213:214]
	v_add_f64 v[26:27], v[120:121], v[26:27]
	v_fma_f64 v[120:121], v[139:140], s[22:23], v[137:138]
	v_add_f64 v[24:25], v[120:121], v[24:25]
	v_fma_f64 v[120:121], v[147:148], s[22:23], -v[217:218]
	v_add_f64 v[26:27], v[120:121], v[26:27]
	v_fma_f64 v[120:121], v[135:136], s[6:7], v[211:212]
	v_add_f64 v[24:25], v[120:121], v[24:25]
	v_fma_f64 v[120:121], v[143:144], s[6:7], -v[219:220]
	v_add_f64 v[26:27], v[120:121], v[26:27]
	v_fma_f64 v[120:121], v[155:156], s[18:19], v[215:216]
	v_add_f64 v[24:25], v[120:121], v[24:25]
	v_fma_f64 v[120:121], v[159:160], s[18:19], -v[221:222]
	v_add_f64 v[26:27], v[120:121], v[26:27]
	v_mul_f64 v[120:121], v[30:31], s[40:41]
	v_fma_f64 v[30:31], v[108:109], s[22:23], v[120:121]
	v_add_f64 v[30:31], v[36:37], v[30:31]
	v_add_f64 v[30:31], v[122:123], v[30:31]
	v_mul_f64 v[122:123], v[28:29], s[40:41]
	v_fma_f64 v[28:29], v[110:111], s[22:23], -v[122:123]
	v_add_f64 v[28:29], v[38:39], v[28:29]
	v_add_f64 v[28:29], v[106:107], v[28:29]
	v_fma_f64 v[106:107], v[112:113], s[20:21], v[229:230]
	v_add_f64 v[30:31], v[106:107], v[30:31]
	v_fma_f64 v[106:107], v[116:117], s[20:21], -v[237:238]
	v_add_f64 v[28:29], v[106:107], v[28:29]
	v_fma_f64 v[106:107], v[125:126], s[6:7], v[233:234]
	v_add_f64 v[30:31], v[106:107], v[30:31]
	v_fma_f64 v[106:107], v[129:130], s[6:7], -v[241:242]
	;; [unrolled: 4-line block ×5, first 2 shown]
	v_add_f64 v[127:128], v[106:107], v[28:29]
	v_mul_f64 v[106:107], v[133:134], s[30:31]
	v_fma_f64 v[28:29], v[155:156], s[10:11], v[247:248]
	v_add_f64 v[28:29], v[28:29], v[30:31]
	v_fma_f64 v[30:31], v[159:160], s[10:11], -v[106:107]
	v_add_f64 v[30:31], v[30:31], v[127:128]
	v_mul_lo_u16 v127, v207, 17
	buffer_store_dword v127, off, s[56:59], 0 offset:4 ; 4-byte Folded Spill
	s_and_saveexec_b32 s24, vcc_lo
	s_cbranch_execz .LBB0_7
; %bb.6:
	v_add_f64 v[54:55], v[38:39], v[54:55]
	v_add_f64 v[52:53], v[36:37], v[52:53]
	;; [unrolled: 1-line block ×4, first 2 shown]
	v_mul_f64 v[58:59], v[108:109], s[16:17]
	v_add_f64 v[54:55], v[54:55], v[62:63]
	v_add_f64 v[52:53], v[52:53], v[60:61]
	v_mul_f64 v[60:61], v[110:111], s[18:19]
	v_mul_f64 v[62:63], v[108:109], s[18:19]
	v_add_f64 v[58:59], v[58:59], -v[251:252]
	v_add_f64 v[54:55], v[54:55], v[70:71]
	v_add_f64 v[52:53], v[52:53], v[68:69]
	v_mul_f64 v[68:69], v[110:111], s[8:9]
	v_mul_f64 v[70:71], v[108:109], s[8:9]
	v_add_f64 v[60:61], v[227:228], v[60:61]
	v_add_f64 v[62:63], v[62:63], -v[223:224]
	v_add_f64 v[58:59], v[36:37], v[58:59]
	v_add_f64 v[54:55], v[54:55], v[74:75]
	;; [unrolled: 1-line block ×3, first 2 shown]
	v_mul_f64 v[72:73], v[110:111], s[6:7]
	v_mul_f64 v[74:75], v[108:109], s[6:7]
	v_add_f64 v[68:69], v[181:182], v[68:69]
	v_add_f64 v[70:71], v[70:71], -v[175:176]
	v_add_f64 v[60:61], v[38:39], v[60:61]
	v_add_f64 v[62:63], v[36:37], v[62:63]
	;; [unrolled: 1-line block ×4, first 2 shown]
	s_clause 0x1
	buffer_load_dword v78, off, s[56:59], 0 offset:48
	buffer_load_dword v79, off, s[56:59], 0 offset:52
	v_mul_f64 v[76:77], v[110:111], s[4:5]
	v_add_f64 v[72:73], v[149:150], v[72:73]
	v_add_f64 v[74:75], v[74:75], -v[145:146]
	v_add_f64 v[68:69], v[38:39], v[68:69]
	v_add_f64 v[70:71], v[36:37], v[70:71]
	;; [unrolled: 1-line block ×4, first 2 shown]
	s_clause 0x1
	buffer_load_dword v80, off, s[56:59], 0 offset:40
	buffer_load_dword v81, off, s[56:59], 0 offset:44
	v_add_f64 v[72:73], v[38:39], v[72:73]
	v_add_f64 v[74:75], v[36:37], v[74:75]
	;; [unrolled: 1-line block ×12, first 2 shown]
	v_mul_f64 v[56:57], v[110:111], s[16:17]
	v_mul_f64 v[64:65], v[110:111], s[10:11]
	v_mul_f64 v[66:67], v[108:109], s[10:11]
	v_add_f64 v[50:51], v[52:53], v[50:51]
	v_add_f64 v[48:49], v[54:55], v[48:49]
	v_mul_f64 v[52:53], v[110:111], s[20:21]
	v_mul_f64 v[54:55], v[108:109], s[20:21]
	v_add_f64 v[56:57], v[102:103], v[56:57]
	v_add_f64 v[64:65], v[203:204], v[64:65]
	v_add_f64 v[66:67], v[66:67], -v[197:198]
	v_add_f64 v[46:47], v[50:51], v[46:47]
	v_add_f64 v[44:45], v[48:49], v[44:45]
	v_mul_f64 v[48:49], v[110:111], s[22:23]
	v_mul_f64 v[50:51], v[108:109], s[22:23]
	v_add_f64 v[52:53], v[118:119], v[52:53]
	v_add_f64 v[54:55], v[54:55], -v[114:115]
	v_add_f64 v[88:89], v[38:39], v[56:57]
	v_add_f64 v[64:65], v[38:39], v[64:65]
	;; [unrolled: 1-line block ×3, first 2 shown]
	v_mul_f64 v[56:57], v[135:136], s[22:23]
	v_add_f64 v[48:49], v[122:123], v[48:49]
	v_add_f64 v[50:51], v[50:51], -v[120:121]
	v_add_f64 v[84:85], v[38:39], v[52:53]
	v_add_f64 v[86:87], v[36:37], v[54:55]
	v_mul_f64 v[54:55], v[143:144], s[22:23]
	v_mul_f64 v[52:53], v[139:140], s[22:23]
	v_add_f64 v[56:57], v[56:57], -v[177:178]
	v_mul_f64 v[177:178], v[139:140], s[6:7]
	v_add_f64 v[82:83], v[36:37], v[50:51]
	v_mul_f64 v[50:51], v[135:136], s[6:7]
	v_add_f64 v[187:188], v[187:188], v[54:55]
	v_mul_f64 v[54:55], v[147:148], s[6:7]
	v_add_f64 v[149:150], v[52:53], -v[137:138]
	v_mul_f64 v[52:53], v[151:152], s[4:5]
	s_clause 0x1
	buffer_load_dword v137, off, s[56:59], 0 offset:568
	buffer_load_dword v138, off, s[56:59], 0 offset:572
	v_add_f64 v[171:172], v[177:178], -v[171:172]
	v_mul_f64 v[177:178], v[151:152], s[10:11]
	v_add_f64 v[50:51], v[50:51], -v[211:212]
	v_add_f64 v[185:186], v[185:186], v[54:55]
	v_mul_f64 v[54:55], v[163:164], s[10:11]
	v_add_f64 v[175:176], v[52:53], -v[201:202]
	v_mul_f64 v[52:53], v[125:126], s[16:17]
	v_add_f64 v[167:168], v[177:178], -v[167:168]
	v_mul_f64 v[177:178], v[125:126], s[20:21]
	v_add_f64 v[179:180], v[179:180], v[54:55]
	v_mul_f64 v[54:55], v[129:130], s[20:21]
	v_add_f64 v[181:182], v[52:53], -v[195:196]
	v_mul_f64 v[52:53], v[112:113], s[10:11]
	v_add_f64 v[161:162], v[177:178], -v[161:162]
	v_mul_f64 v[177:178], v[112:113], s[4:5]
	;; [unrolled: 6-line block ×3, first 2 shown]
	v_add_f64 v[169:170], v[169:170], v[54:55]
	v_mul_f64 v[54:55], v[104:105], s[18:19]
	v_add_f64 v[191:192], v[52:53], -v[191:192]
	v_mul_f64 v[52:53], v[159:160], s[8:9]
	s_waitcnt vmcnt(4)
	v_add_f64 v[76:77], v[78:79], v[76:77]
	v_mul_f64 v[78:79], v[108:109], s[4:5]
	v_add_f64 v[153:154], v[177:178], -v[153:154]
	v_mul_f64 v[177:178], v[163:164], s[22:23]
	v_add_f64 v[165:166], v[165:166], v[54:55]
	v_mul_f64 v[54:55], v[155:156], s[8:9]
	v_add_f64 v[52:53], v[189:190], v[52:53]
	v_add_f64 v[76:77], v[38:39], v[76:77]
	s_waitcnt vmcnt(2)
	v_add_f64 v[78:79], v[78:79], -v[80:81]
	v_add_f64 v[80:81], v[38:39], v[48:49]
	v_add_f64 v[38:39], v[44:45], v[40:41]
	v_mul_f64 v[40:41], v[159:160], s[10:11]
	v_add_f64 v[141:142], v[141:142], v[177:178]
	v_mul_f64 v[177:178], v[129:130], s[8:9]
	v_mul_f64 v[44:45], v[135:136], s[18:19]
	v_add_f64 v[58:59], v[153:154], v[58:59]
	v_add_f64 v[86:87], v[191:192], v[86:87]
	;; [unrolled: 1-line block ×3, first 2 shown]
	v_add_f64 v[54:55], v[54:55], -v[183:184]
	s_clause 0x3
	buffer_load_dword v183, off, s[56:59], 0 offset:552
	buffer_load_dword v184, off, s[56:59], 0 offset:556
	;; [unrolled: 1-line block ×4, first 2 shown]
	v_add_f64 v[78:79], v[36:37], v[78:79]
	v_add_f64 v[36:37], v[46:47], v[42:43]
	v_mul_f64 v[46:47], v[139:140], s[8:9]
	v_add_f64 v[42:43], v[106:107], v[40:41]
	s_clause 0x3
	buffer_load_dword v195, off, s[56:59], 0 offset:560
	buffer_load_dword v196, off, s[56:59], 0 offset:564
	;; [unrolled: 1-line block ×4, first 2 shown]
	v_mul_f64 v[40:41], v[143:144], s[18:19]
	v_add_f64 v[44:45], v[44:45], -v[243:244]
	v_add_f64 v[58:59], v[157:158], v[58:59]
	v_add_f64 v[86:87], v[193:194], v[86:87]
	;; [unrolled: 1-line block ×5, first 2 shown]
	v_add_f64 v[106:107], v[46:47], -v[239:240]
	v_mul_f64 v[46:47], v[151:152], s[16:17]
	v_add_f64 v[90:91], v[253:254], v[40:41]
	v_mul_f64 v[40:41], v[147:148], s[8:9]
	v_add_f64 v[58:59], v[161:162], v[58:59]
	v_add_f64 v[86:87], v[181:182], v[86:87]
	;; [unrolled: 1-line block ×3, first 2 shown]
	v_add_f64 v[108:109], v[46:47], -v[235:236]
	v_mul_f64 v[46:47], v[125:126], s[6:7]
	v_add_f64 v[92:93], v[249:250], v[40:41]
	v_mul_f64 v[40:41], v[163:164], s[16:17]
	v_add_f64 v[58:59], v[167:168], v[58:59]
	v_add_f64 v[86:87], v[175:176], v[86:87]
	;; [unrolled: 1-line block ×3, first 2 shown]
	v_add_f64 v[110:111], v[46:47], -v[233:234]
	v_mul_f64 v[46:47], v[112:113], s[20:21]
	v_add_f64 v[94:95], v[245:246], v[40:41]
	v_mov_b32_e32 v245, v208
	v_mul_f64 v[207:208], v[104:105], s[22:23]
	v_mul_f64 v[40:41], v[129:130], s[6:7]
	v_add_f64 v[58:59], v[171:172], v[58:59]
	v_add_f64 v[86:87], v[149:150], v[86:87]
	;; [unrolled: 1-line block ×3, first 2 shown]
	v_add_f64 v[114:115], v[46:47], -v[229:230]
	v_mul_f64 v[46:47], v[100:101], s[4:5]
	v_add_f64 v[96:97], v[241:242], v[40:41]
	v_mul_f64 v[40:41], v[116:117], s[20:21]
	v_add_f64 v[86:87], v[50:51], v[86:87]
	v_add_f64 v[88:89], v[187:188], v[88:89]
	v_add_f64 v[118:119], v[46:47], -v[225:226]
	v_mul_f64 v[46:47], v[159:160], s[18:19]
	v_add_f64 v[98:99], v[237:238], v[40:41]
	v_mul_f64 v[40:41], v[104:105], s[4:5]
	v_add_f64 v[52:53], v[52:53], v[88:89]
	v_add_f64 v[82:83], v[118:119], v[82:83]
	;; [unrolled: 1-line block ×3, first 2 shown]
	v_mul_f64 v[46:47], v[143:144], s[6:7]
	v_add_f64 v[102:103], v[231:232], v[40:41]
	v_mul_f64 v[40:41], v[155:156], s[10:11]
	v_add_f64 v[82:83], v[114:115], v[82:83]
	v_add_f64 v[120:121], v[219:220], v[46:47]
	v_mul_f64 v[46:47], v[147:148], s[22:23]
	v_add_f64 v[80:81], v[102:103], v[80:81]
	v_add_f64 v[40:41], v[40:41], -v[247:248]
	v_mul_f64 v[102:103], v[163:164], s[20:21]
	v_add_f64 v[82:83], v[110:111], v[82:83]
	s_waitcnt vmcnt(8)
	v_add_f64 v[137:138], v[137:138], v[177:178]
	v_mul_f64 v[177:178], v[116:117], s[6:7]
	v_add_f64 v[122:123], v[217:218], v[46:47]
	v_mul_f64 v[46:47], v[163:164], s[4:5]
	;; [unrolled: 2-line block ×3, first 2 shown]
	v_add_f64 v[82:83], v[108:109], v[82:83]
	v_add_f64 v[127:128], v[213:214], v[46:47]
	v_mul_f64 v[46:47], v[129:130], s[16:17]
	v_add_f64 v[80:81], v[96:97], v[80:81]
	v_mul_f64 v[96:97], v[163:164], s[18:19]
	v_add_f64 v[82:83], v[106:107], v[82:83]
	v_add_f64 v[131:132], v[209:210], v[46:47]
	v_mul_f64 v[46:47], v[116:117], s[10:11]
	v_add_f64 v[80:81], v[94:95], v[80:81]
	v_mul_f64 v[94:95], v[151:152], s[18:19]
	;; [unrolled: 5-line block ×3, first 2 shown]
	v_add_f64 v[40:41], v[40:41], v[44:45]
	v_add_f64 v[145:146], v[199:200], v[46:47]
	s_clause 0x9
	buffer_load_dword v199, off, s[56:59], 0 offset:528
	buffer_load_dword v200, off, s[56:59], 0 offset:532
	;; [unrolled: 1-line block ×10, first 2 shown]
	v_mul_f64 v[46:47], v[155:156], s[18:19]
	v_add_f64 v[80:81], v[90:91], v[80:81]
	v_mul_f64 v[90:91], v[139:140], s[10:11]
	v_add_f64 v[84:85], v[145:146], v[84:85]
	v_add_f64 v[46:47], v[46:47], -v[215:216]
	v_add_f64 v[42:43], v[42:43], v[80:81]
	s_waitcnt vmcnt(16)
	v_add_f64 v[177:178], v[183:184], v[177:178]
	v_mul_f64 v[183:184], v[104:105], s[20:21]
	v_add_f64 v[84:85], v[133:134], v[84:85]
	v_add_f64 v[46:47], v[46:47], v[86:87]
	s_waitcnt vmcnt(14)
	v_add_f64 v[183:184], v[189:190], v[183:184]
	v_mul_f64 v[189:190], v[151:152], s[22:23]
	v_add_f64 v[84:85], v[131:132], v[84:85]
	v_add_f64 v[60:61], v[183:184], v[60:61]
	s_waitcnt vmcnt(12)
	v_add_f64 v[189:190], v[189:190], -v[195:196]
	v_mul_f64 v[195:196], v[125:126], s[8:9]
	v_add_f64 v[84:85], v[127:128], v[84:85]
	v_add_f64 v[60:61], v[177:178], v[60:61]
	s_waitcnt vmcnt(10)
	v_add_f64 v[195:196], v[195:196], -v[197:198]
	v_mul_f64 v[197:198], v[112:113], s[6:7]
	v_add_f64 v[84:85], v[122:123], v[84:85]
	v_add_f64 v[60:61], v[137:138], v[60:61]
	;; [unrolled: 1-line block ×5, first 2 shown]
	s_waitcnt vmcnt(8)
	v_add_f64 v[197:198], v[197:198], -v[199:200]
	v_mul_f64 v[199:200], v[100:101], s[20:21]
	s_waitcnt vmcnt(6)
	v_add_f64 v[199:200], v[199:200], -v[201:202]
	v_mul_f64 v[201:202], v[163:164], s[8:9]
	v_add_f64 v[62:63], v[199:200], v[62:63]
	s_waitcnt vmcnt(4)
	v_add_f64 v[201:202], v[203:204], v[201:202]
	v_mul_f64 v[203:204], v[129:130], s[4:5]
	v_add_f64 v[62:63], v[197:198], v[62:63]
	s_waitcnt vmcnt(2)
	v_add_f64 v[203:204], v[205:206], v[203:204]
	;; [unrolled: 4-line block ×3, first 2 shown]
	s_clause 0x15
	buffer_load_dword v209, off, s[56:59], 0 offset:472
	buffer_load_dword v210, off, s[56:59], 0 offset:476
	;; [unrolled: 1-line block ×22, first 2 shown]
	v_add_f64 v[62:63], v[189:190], v[62:63]
	s_waitcnt vmcnt(20)
	v_add_f64 v[207:208], v[209:210], v[207:208]
	v_mul_f64 v[209:210], v[151:152], s[8:9]
	v_add_f64 v[64:65], v[207:208], v[64:65]
	s_waitcnt vmcnt(18)
	v_add_f64 v[209:210], v[209:210], -v[211:212]
	v_mul_f64 v[211:212], v[125:126], s[4:5]
	v_mov_b32_e32 v208, v245
	v_add_f64 v[64:65], v[205:206], v[64:65]
	s_waitcnt vmcnt(16)
	v_add_f64 v[211:212], v[211:212], -v[213:214]
	v_mul_f64 v[213:214], v[112:113], s[18:19]
	v_add_f64 v[64:65], v[203:204], v[64:65]
	s_waitcnt vmcnt(14)
	v_add_f64 v[213:214], v[213:214], -v[215:216]
	v_mul_f64 v[215:216], v[100:101], s[22:23]
	;; [unrolled: 4-line block ×3, first 2 shown]
	v_add_f64 v[66:67], v[215:216], v[66:67]
	s_waitcnt vmcnt(10)
	v_add_f64 v[217:218], v[219:220], v[217:218]
	v_mul_f64 v[219:220], v[104:105], s[16:17]
	v_add_f64 v[66:67], v[213:214], v[66:67]
	s_waitcnt vmcnt(8)
	v_add_f64 v[219:220], v[221:222], v[219:220]
	v_mul_f64 v[221:222], v[116:117], s[22:23]
	v_add_f64 v[66:67], v[211:212], v[66:67]
	v_add_f64 v[68:69], v[219:220], v[68:69]
	s_waitcnt vmcnt(6)
	v_add_f64 v[221:222], v[223:224], v[221:222]
	v_mul_f64 v[223:224], v[129:130], s[18:19]
	v_add_f64 v[66:67], v[209:210], v[66:67]
	;; [unrolled: 5-line block ×3, first 2 shown]
	s_waitcnt vmcnt(2)
	v_add_f64 v[225:226], v[225:226], -v[227:228]
	v_mul_f64 v[227:228], v[104:105], s[10:11]
	v_mul_f64 v[104:105], v[104:105], s[6:7]
	v_add_f64 v[68:69], v[217:218], v[68:69]
	v_add_f64 v[70:71], v[225:226], v[70:71]
	s_waitcnt vmcnt(0)
	v_add_f64 v[227:228], v[229:230], v[227:228]
	s_clause 0x5
	buffer_load_dword v229, off, s[56:59], 0 offset:16
	buffer_load_dword v230, off, s[56:59], 0 offset:20
	;; [unrolled: 1-line block ×6, first 2 shown]
	v_add_f64 v[72:73], v[227:228], v[72:73]
	s_waitcnt vmcnt(4)
	v_add_f64 v[104:105], v[229:230], v[104:105]
	v_mul_f64 v[229:230], v[100:101], s[6:7]
	v_mul_f64 v[100:101], v[100:101], s[10:11]
	v_add_f64 v[76:77], v[104:105], v[76:77]
	s_waitcnt vmcnt(2)
	v_add_f64 v[229:230], v[229:230], -v[231:232]
	v_mul_f64 v[231:232], v[112:113], s[22:23]
	v_add_f64 v[78:79], v[229:230], v[78:79]
	s_waitcnt vmcnt(0)
	v_add_f64 v[231:232], v[231:232], -v[233:234]
	s_clause 0x3
	buffer_load_dword v233, off, s[56:59], 0 offset:264
	buffer_load_dword v234, off, s[56:59], 0 offset:268
	;; [unrolled: 1-line block ×4, first 2 shown]
	v_add_f64 v[70:71], v[231:232], v[70:71]
	s_waitcnt vmcnt(2)
	v_add_f64 v[100:101], v[100:101], -v[233:234]
	v_mul_f64 v[233:234], v[116:117], s[16:17]
	v_mul_f64 v[116:117], v[116:117], s[8:9]
	v_add_f64 v[74:75], v[100:101], v[74:75]
	s_waitcnt vmcnt(0)
	v_add_f64 v[233:234], v[235:236], v[233:234]
	s_clause 0x3
	buffer_load_dword v235, off, s[56:59], 0 offset:32
	buffer_load_dword v236, off, s[56:59], 0 offset:36
	;; [unrolled: 1-line block ×4, first 2 shown]
	v_add_f64 v[72:73], v[233:234], v[72:73]
	s_waitcnt vmcnt(2)
	v_add_f64 v[116:117], v[235:236], v[116:117]
	v_mul_f64 v[235:236], v[112:113], s[8:9]
	v_mul_f64 v[112:113], v[112:113], s[16:17]
	v_add_f64 v[76:77], v[116:117], v[76:77]
	s_waitcnt vmcnt(0)
	v_add_f64 v[235:236], v[235:236], -v[237:238]
	s_clause 0x5
	buffer_load_dword v237, off, s[56:59], 0 offset:272
	buffer_load_dword v238, off, s[56:59], 0 offset:276
	buffer_load_dword v239, off, s[56:59], 0 offset:368
	buffer_load_dword v240, off, s[56:59], 0 offset:372
	buffer_load_dword v241, off, s[56:59], 0 offset:288
	buffer_load_dword v242, off, s[56:59], 0 offset:292
	v_add_f64 v[78:79], v[235:236], v[78:79]
	s_waitcnt vmcnt(4)
	v_add_f64 v[112:113], v[112:113], -v[237:238]
	v_mul_f64 v[237:238], v[125:126], s[18:19]
	v_add_f64 v[74:75], v[112:113], v[74:75]
	s_waitcnt vmcnt(2)
	v_add_f64 v[237:238], v[237:238], -v[239:240]
	v_mul_f64 v[239:240], v[129:130], s[22:23]
	v_mul_f64 v[129:130], v[129:130], s[10:11]
	v_add_f64 v[70:71], v[237:238], v[70:71]
	s_waitcnt vmcnt(0)
	v_add_f64 v[239:240], v[241:242], v[239:240]
	s_clause 0x3
	buffer_load_dword v241, off, s[56:59], 0 offset:64
	buffer_load_dword v242, off, s[56:59], 0 offset:68
	buffer_load_dword v243, off, s[56:59], 0 offset:56
	buffer_load_dword v244, off, s[56:59], 0 offset:60
	v_add_f64 v[72:73], v[239:240], v[72:73]
	s_waitcnt vmcnt(2)
	v_add_f64 v[129:130], v[241:242], v[129:130]
	v_mul_f64 v[241:242], v[125:126], s[10:11]
	v_mul_f64 v[125:126], v[125:126], s[22:23]
	v_add_f64 v[76:77], v[129:130], v[76:77]
	s_waitcnt vmcnt(0)
	v_add_f64 v[241:242], v[241:242], -v[243:244]
	s_clause 0xb
	buffer_load_dword v243, off, s[56:59], 0 offset:248
	buffer_load_dword v244, off, s[56:59], 0 offset:252
	;; [unrolled: 1-line block ×12, first 2 shown]
	v_add_f64 v[78:79], v[241:242], v[78:79]
	s_waitcnt vmcnt(10)
	v_add_f64 v[125:126], v[125:126], -v[243:244]
	v_mul_f64 v[243:244], v[151:152], s[6:7]
	s_waitcnt vmcnt(6)
	v_add_f64 v[102:103], v[145:146], v[102:103]
	s_waitcnt vmcnt(4)
	v_add_f64 v[98:99], v[98:99], -v[118:119]
	s_waitcnt vmcnt(2)
	v_add_f64 v[96:97], v[114:115], v[96:97]
	s_waitcnt vmcnt(0)
	v_add_f64 v[94:95], v[94:95], -v[100:101]
	s_clause 0x1
	buffer_load_dword v100, off, s[56:59], 0 offset:448
	buffer_load_dword v101, off, s[56:59], 0 offset:452
	v_add_f64 v[74:75], v[125:126], v[74:75]
	v_add_f64 v[243:244], v[243:244], -v[246:247]
	v_add_f64 v[72:73], v[102:103], v[72:73]
	v_mul_f64 v[102:103], v[139:140], s[18:19]
	v_add_f64 v[76:77], v[96:97], v[76:77]
	v_add_f64 v[78:79], v[94:95], v[78:79]
	v_mul_f64 v[94:95], v[143:144], s[4:5]
	v_mul_f64 v[96:97], v[139:140], s[16:17]
	v_add_f64 v[74:75], v[98:99], v[74:75]
	v_add_f64 v[70:71], v[243:244], v[70:71]
	s_waitcnt vmcnt(0)
	v_add_f64 v[92:93], v[100:101], v[92:93]
	s_clause 0xb
	buffer_load_dword v100, off, s[56:59], 0 offset:432
	buffer_load_dword v101, off, s[56:59], 0 offset:436
	;; [unrolled: 1-line block ×12, first 2 shown]
	v_add_f64 v[60:61], v[92:93], v[60:61]
	v_mul_f64 v[92:93], v[135:136], s[4:5]
	s_waitcnt vmcnt(10)
	v_add_f64 v[90:91], v[90:91], -v[100:101]
	v_mul_f64 v[100:101], v[147:148], s[20:21]
	v_add_f64 v[62:63], v[90:91], v[62:63]
	s_waitcnt vmcnt(8)
	v_add_f64 v[100:101], v[104:105], v[100:101]
	v_mul_f64 v[104:105], v[139:140], s[20:21]
	v_mul_f64 v[90:91], v[159:160], s[16:17]
	v_add_f64 v[64:65], v[100:101], v[64:65]
	s_waitcnt vmcnt(6)
	v_add_f64 v[104:105], v[104:105], -v[106:107]
	v_mul_f64 v[106:107], v[147:148], s[4:5]
	v_mul_f64 v[100:101], v[135:136], s[16:17]
	v_add_f64 v[66:67], v[104:105], v[66:67]
	s_waitcnt vmcnt(4)
	v_add_f64 v[106:107], v[108:109], v[106:107]
	v_mul_f64 v[108:109], v[139:140], s[4:5]
	v_add_f64 v[68:69], v[106:107], v[68:69]
	s_waitcnt vmcnt(2)
	v_add_f64 v[108:109], v[108:109], -v[110:111]
	v_mul_f64 v[110:111], v[147:148], s[18:19]
	v_mul_f64 v[106:107], v[135:136], s[10:11]
	v_add_f64 v[70:71], v[108:109], v[70:71]
	s_waitcnt vmcnt(0)
	v_add_f64 v[110:111], v[112:113], v[110:111]
	s_clause 0x3
	buffer_load_dword v112, off, s[56:59], 0 offset:168
	buffer_load_dword v113, off, s[56:59], 0 offset:172
	;; [unrolled: 1-line block ×4, first 2 shown]
	v_add_f64 v[72:73], v[110:111], v[72:73]
	v_mul_f64 v[110:111], v[135:136], s[8:9]
	s_waitcnt vmcnt(2)
	v_add_f64 v[102:103], v[102:103], -v[112:113]
	v_mul_f64 v[112:113], v[147:148], s[16:17]
	v_add_f64 v[74:75], v[102:103], v[74:75]
	s_waitcnt vmcnt(0)
	v_add_f64 v[112:113], v[114:115], v[112:113]
	s_clause 0x3
	buffer_load_dword v114, off, s[56:59], 0 offset:80
	buffer_load_dword v115, off, s[56:59], 0 offset:84
	;; [unrolled: 1-line block ×4, first 2 shown]
	v_add_f64 v[76:77], v[112:113], v[76:77]
	v_mul_f64 v[112:113], v[135:136], s[20:21]
	s_waitcnt vmcnt(2)
	v_add_f64 v[96:97], v[96:97], -v[114:115]
	s_waitcnt vmcnt(0)
	v_add_f64 v[94:95], v[98:99], v[94:95]
	s_clause 0x3
	buffer_load_dword v98, off, s[56:59], 0 offset:392
	buffer_load_dword v99, off, s[56:59], 0 offset:396
	;; [unrolled: 1-line block ×4, first 2 shown]
	v_add_f64 v[78:79], v[96:97], v[78:79]
	v_add_f64 v[60:61], v[94:95], v[60:61]
	v_mul_f64 v[94:95], v[155:156], s[16:17]
	s_waitcnt vmcnt(2)
	v_add_f64 v[92:93], v[92:93], -v[98:99]
	v_mul_f64 v[98:99], v[143:144], s[16:17]
	v_add_f64 v[92:93], v[92:93], v[62:63]
	s_waitcnt vmcnt(0)
	v_add_f64 v[98:99], v[114:115], v[98:99]
	s_clause 0x3
	buffer_load_dword v114, off, s[56:59], 0 offset:312
	buffer_load_dword v115, off, s[56:59], 0 offset:316
	;; [unrolled: 1-line block ×4, first 2 shown]
	v_add_f64 v[64:65], v[98:99], v[64:65]
	v_mul_f64 v[98:99], v[155:156], s[6:7]
	s_waitcnt vmcnt(2)
	v_add_f64 v[100:101], v[100:101], -v[114:115]
	v_mul_f64 v[114:115], v[143:144], s[10:11]
	v_add_f64 v[100:101], v[100:101], v[66:67]
	s_waitcnt vmcnt(0)
	v_add_f64 v[114:115], v[116:117], v[114:115]
	s_clause 0x3
	buffer_load_dword v116, off, s[56:59], 0 offset:200
	buffer_load_dword v117, off, s[56:59], 0 offset:204
	buffer_load_dword v118, off, s[56:59], 0 offset:160
	buffer_load_dword v119, off, s[56:59], 0 offset:164
	v_add_f64 v[68:69], v[114:115], v[68:69]
	s_waitcnt vmcnt(2)
	v_add_f64 v[106:107], v[106:107], -v[116:117]
	v_mul_f64 v[116:117], v[143:144], s[8:9]
	v_add_f64 v[106:107], v[106:107], v[70:71]
	s_waitcnt vmcnt(0)
	v_add_f64 v[116:117], v[118:119], v[116:117]
	s_clause 0x3
	buffer_load_dword v118, off, s[56:59], 0 offset:152
	buffer_load_dword v119, off, s[56:59], 0 offset:156
	buffer_load_dword v120, off, s[56:59], 0 offset:88
	buffer_load_dword v121, off, s[56:59], 0 offset:92
	v_add_f64 v[72:73], v[116:117], v[72:73]
	;; [unrolled: 12-line block ×3, first 2 shown]
	v_mul_f64 v[118:119], v[155:156], s[22:23]
	s_waitcnt vmcnt(2)
	v_add_f64 v[112:113], v[112:113], -v[120:121]
	s_waitcnt vmcnt(0)
	v_add_f64 v[90:91], v[96:97], v[90:91]
	s_clause 0x3
	buffer_load_dword v96, off, s[56:59], 0 offset:344
	buffer_load_dword v97, off, s[56:59], 0 offset:348
	;; [unrolled: 1-line block ×4, first 2 shown]
	v_add_f64 v[78:79], v[112:113], v[78:79]
	v_add_f64 v[112:113], v[56:57], v[58:59]
	v_add_f64 v[58:59], v[90:91], v[60:61]
	v_add_f64 v[50:51], v[54:55], v[112:113]
	s_waitcnt vmcnt(2)
	v_add_f64 v[94:95], v[94:95], -v[96:97]
	v_mul_f64 v[96:97], v[159:160], s[6:7]
	v_add_f64 v[56:57], v[94:95], v[92:93]
	s_waitcnt vmcnt(0)
	v_add_f64 v[96:97], v[102:103], v[96:97]
	s_clause 0xb
	buffer_load_dword v102, off, s[56:59], 0 offset:240
	buffer_load_dword v103, off, s[56:59], 0 offset:244
	;; [unrolled: 1-line block ×12, first 2 shown]
	v_add_f64 v[62:63], v[96:97], v[64:65]
	s_waitcnt vmcnt(10)
	v_add_f64 v[98:99], v[98:99], -v[102:103]
	v_mul_f64 v[102:103], v[159:160], s[20:21]
	v_add_f64 v[60:61], v[98:99], v[100:101]
	s_waitcnt vmcnt(8)
	v_add_f64 v[102:103], v[104:105], v[102:103]
	v_mul_f64 v[104:105], v[155:156], s[20:21]
	v_add_f64 v[66:67], v[102:103], v[68:69]
	s_waitcnt vmcnt(6)
	v_add_f64 v[104:105], v[104:105], -v[108:109]
	v_mul_f64 v[108:109], v[159:160], s[4:5]
	v_add_f64 v[64:65], v[104:105], v[106:107]
	s_waitcnt vmcnt(4)
	v_add_f64 v[108:109], v[114:115], v[108:109]
	v_mul_f64 v[114:115], v[155:156], s[4:5]
	v_add_f64 v[70:71], v[108:109], v[72:73]
	s_waitcnt vmcnt(2)
	v_add_f64 v[114:115], v[114:115], -v[116:117]
	v_mul_f64 v[116:117], v[159:160], s[22:23]
	v_add_f64 v[68:69], v[114:115], v[110:111]
	s_waitcnt vmcnt(0)
	v_add_f64 v[116:117], v[120:121], v[116:117]
	s_clause 0x2
	buffer_load_dword v120, off, s[56:59], 0 offset:112
	buffer_load_dword v121, off, s[56:59], 0 offset:116
	;; [unrolled: 1-line block ×3, first 2 shown]
	v_add_f64 v[74:75], v[116:117], v[76:77]
	s_waitcnt vmcnt(1)
	v_add_f64 v[118:119], v[118:119], -v[120:121]
	s_waitcnt vmcnt(0)
	v_and_b32_e32 v36, 0xffff, v36
	v_add_lshl_u32 v36, v255, v36, 4
	v_add_f64 v[72:73], v[118:119], v[78:79]
	ds_write_b128 v36, v[32:35]
	ds_write_b128 v36, v[72:75] offset:16
	ds_write_b128 v36, v[68:71] offset:32
	;; [unrolled: 1-line block ×16, first 2 shown]
.LBB0_7:
	s_or_b32 exec_lo, exec_lo, s24
	buffer_load_dword v207, off, s[56:59], 0 ; 4-byte Folded Reload
	v_mov_b32_e32 v44, 5
	s_load_dwordx4 s[4:7], s[2:3], 0x0
	s_waitcnt vmcnt(0) lgkmcnt(0)
	s_waitcnt_vscnt null, 0x0
	s_barrier
	buffer_gl0_inv
	s_mov_b32 s2, 0xe8584caa
	s_mov_b32 s3, 0x3febb67a
	;; [unrolled: 1-line block ×4, first 2 shown]
	v_mov_b32_e32 v131, 51
	s_mov_b32 s10, 0x8c811c17
	s_mov_b32 s16, 0xa2cf5039
	;; [unrolled: 1-line block ×4, first 2 shown]
	v_and_b32_e32 v32, 0xff, v207
	v_add_nc_u16 v33, v207, 51
	v_add_lshl_u32 v166, v255, v207, 4
	v_lshl_add_u32 v167, v207, 4, v208
	v_lshl_add_u32 v165, v207, 4, v208
	v_mul_lo_u16 v32, 0xf1, v32
	v_and_b32_e32 v34, 0xff, v33
	v_lshrrev_b16 v125, 12, v32
	v_add_nc_u16 v32, v207, 0x66
	v_mul_lo_u16 v34, 0xf1, v34
	v_mul_lo_u16 v35, v125, 17
	v_and_b32_e32 v36, 0xff, v32
	v_lshrrev_b16 v126, 12, v34
	v_sub_nc_u16 v127, v207, v35
	v_mul_lo_u16 v34, 0xf1, v36
	v_mul_lo_u16 v35, v126, 17
	v_mul_u32_u24_sdwa v126, v126, v131 dst_sel:DWORD dst_unused:UNUSED_PAD src0_sel:WORD_0 src1_sel:DWORD
	v_lshlrev_b16 v36, 1, v127
	v_lshrrev_b16 v128, 12, v34
	v_sub_nc_u16 v129, v33, v35
	v_mad_u16 v125, v125, 51, v127
	v_and_b32_e32 v33, 0xfe, v36
	v_mul_lo_u16 v34, v128, 17
	v_lshlrev_b32_sdwa v36, v44, v129 dst_sel:DWORD dst_unused:UNUSED_PAD src0_sel:DWORD src1_sel:BYTE_0
	v_mul_u32_u24_sdwa v128, v128, v131 dst_sel:DWORD dst_unused:UNUSED_PAD src0_sel:WORD_0 src1_sel:DWORD
	v_lshlrev_b32_e32 v45, 4, v33
	v_sub_nc_u16 v130, v32, v34
	s_clause 0x3
	global_load_dwordx4 v[32:35], v36, s[0:1] offset:16
	global_load_dwordx4 v[36:39], v36, s[0:1]
	global_load_dwordx4 v[40:43], v45, s[0:1] offset:16
	global_load_dwordx4 v[52:55], v45, s[0:1]
	v_lshlrev_b32_sdwa v44, v44, v130 dst_sel:DWORD dst_unused:UNUSED_PAD src0_sel:DWORD src1_sel:BYTE_0
	s_clause 0x1
	global_load_dwordx4 v[48:51], v44, s[0:1]
	global_load_dwordx4 v[44:47], v44, s[0:1] offset:16
	ds_read_b128 v[56:59], v166 offset:3264
	ds_read_b128 v[60:63], v166 offset:5712
	;; [unrolled: 1-line block ×7, first 2 shown]
	s_waitcnt vmcnt(5) lgkmcnt(5)
	v_mul_f64 v[86:87], v[62:63], v[34:35]
	s_waitcnt vmcnt(4)
	v_mul_f64 v[84:85], v[58:59], v[38:39]
	s_waitcnt vmcnt(3) lgkmcnt(3)
	v_mul_f64 v[90:91], v[70:71], v[42:43]
	s_waitcnt vmcnt(2)
	v_mul_f64 v[88:89], v[66:67], v[54:55]
	v_mul_f64 v[92:93], v[64:65], v[54:55]
	;; [unrolled: 1-line block ×5, first 2 shown]
	s_waitcnt vmcnt(1) lgkmcnt(2)
	v_mul_f64 v[100:101], v[74:75], v[50:51]
	s_waitcnt vmcnt(0) lgkmcnt(1)
	v_mul_f64 v[102:103], v[78:79], v[46:47]
	v_mul_f64 v[104:105], v[72:73], v[50:51]
	;; [unrolled: 1-line block ×3, first 2 shown]
	v_fma_f64 v[86:87], v[60:61], v[32:33], -v[86:87]
	v_fma_f64 v[84:85], v[56:57], v[36:37], -v[84:85]
	;; [unrolled: 1-line block ×4, first 2 shown]
	v_fma_f64 v[66:67], v[66:67], v[52:53], v[92:93]
	v_fma_f64 v[70:71], v[70:71], v[40:41], v[94:95]
	;; [unrolled: 1-line block ×4, first 2 shown]
	ds_read_b128 v[56:59], v166 offset:816
	ds_read_b128 v[60:63], v166
	s_waitcnt lgkmcnt(0)
	v_fma_f64 v[72:73], v[72:73], v[48:49], -v[100:101]
	v_fma_f64 v[76:77], v[76:77], v[44:45], -v[102:103]
	v_fma_f64 v[74:75], v[74:75], v[48:49], v[104:105]
	v_fma_f64 v[78:79], v[78:79], v[44:45], v[106:107]
	s_barrier
	buffer_gl0_inv
	v_add_f64 v[92:93], v[84:85], v[86:87]
	v_add_f64 v[94:95], v[64:65], v[68:69]
	v_add_f64 v[118:119], v[64:65], -v[68:69]
	v_add_f64 v[96:97], v[66:67], v[70:71]
	v_add_f64 v[112:113], v[60:61], v[64:65]
	;; [unrolled: 1-line block ×4, first 2 shown]
	v_add_f64 v[116:117], v[66:67], -v[70:71]
	v_add_f64 v[108:109], v[80:81], v[72:73]
	v_add_f64 v[100:101], v[72:73], v[76:77]
	;; [unrolled: 1-line block ×5, first 2 shown]
	v_add_f64 v[106:107], v[88:89], -v[90:91]
	v_add_f64 v[88:89], v[58:59], v[88:89]
	v_add_f64 v[84:85], v[84:85], -v[86:87]
	v_add_f64 v[120:121], v[74:75], -v[78:79]
	;; [unrolled: 1-line block ×3, first 2 shown]
	v_fma_f64 v[92:93], v[92:93], -0.5, v[56:57]
	v_fma_f64 v[94:95], v[94:95], -0.5, v[60:61]
	v_fma_f64 v[96:97], v[96:97], -0.5, v[62:63]
	v_add_f64 v[64:65], v[112:113], v[68:69]
	v_fma_f64 v[98:99], v[98:99], -0.5, v[58:59]
	v_add_f64 v[66:67], v[114:115], v[70:71]
	v_add_f64 v[60:61], v[108:109], v[76:77]
	v_fma_f64 v[100:101], v[100:101], -0.5, v[80:81]
	v_add_f64 v[62:63], v[110:111], v[78:79]
	v_fma_f64 v[102:103], v[102:103], -0.5, v[82:83]
	v_add_f64 v[56:57], v[104:105], v[86:87]
	v_add_f64 v[58:59], v[88:89], v[90:91]
	v_fma_f64 v[68:69], v[106:107], s[2:3], v[92:93]
	v_fma_f64 v[72:73], v[106:107], s[8:9], v[92:93]
	;; [unrolled: 1-line block ×8, first 2 shown]
	v_and_b32_e32 v92, 0xff, v125
	v_add_nc_u32_sdwa v93, v126, v129 dst_sel:DWORD dst_unused:UNUSED_PAD src0_sel:DWORD src1_sel:BYTE_0
	v_fma_f64 v[84:85], v[120:121], s[2:3], v[100:101]
	v_fma_f64 v[88:89], v[120:121], s[8:9], v[100:101]
	;; [unrolled: 1-line block ×4, first 2 shown]
	v_add_nc_u32_sdwa v94, v128, v130 dst_sel:DWORD dst_unused:UNUSED_PAD src0_sel:DWORD src1_sel:BYTE_0
	v_lshlrev_b32_e32 v95, 7, v207
	v_add_lshl_u32 v170, v255, v92, 4
	v_add_lshl_u32 v169, v255, v93, 4
	s_mov_b32 s2, 0xe8584cab
	v_add_lshl_u32 v168, v255, v94, 4
	s_mov_b32 s8, s2
	ds_write_b128 v170, v[64:67]
	ds_write_b128 v170, v[76:79] offset:272
	ds_write_b128 v170, v[80:83] offset:544
	ds_write_b128 v169, v[56:59]
	ds_write_b128 v169, v[68:71] offset:272
	ds_write_b128 v169, v[72:75] offset:544
	;; [unrolled: 3-line block ×3, first 2 shown]
	s_waitcnt lgkmcnt(0)
	s_barrier
	buffer_gl0_inv
	s_clause 0x7
	global_load_dwordx4 v[64:67], v95, s[0:1] offset:544
	global_load_dwordx4 v[72:75], v95, s[0:1] offset:656
	;; [unrolled: 1-line block ×8, first 2 shown]
	ds_read_b128 v[88:91], v166 offset:816
	ds_read_b128 v[92:95], v166 offset:6528
	;; [unrolled: 1-line block ×8, first 2 shown]
	s_mov_b32 s1, 0x3fe491b7
	s_mov_b32 s0, 0x523c161c
	s_waitcnt vmcnt(7) lgkmcnt(7)
	v_mul_f64 v[120:121], v[90:91], v[66:67]
	v_mul_f64 v[122:123], v[88:89], v[66:67]
	s_waitcnt vmcnt(6) lgkmcnt(6)
	v_mul_f64 v[125:126], v[94:95], v[74:75]
	v_mul_f64 v[127:128], v[92:93], v[74:75]
	;; [unrolled: 3-line block ×6, first 2 shown]
	v_fma_f64 v[120:121], v[88:89], v[64:65], -v[120:121]
	v_fma_f64 v[122:123], v[90:91], v[64:65], v[122:123]
	ds_read_b128 v[88:91], v166
	v_fma_f64 v[92:93], v[92:93], v[72:73], -v[125:126]
	v_fma_f64 v[94:95], v[94:95], v[72:73], v[127:128]
	v_fma_f64 v[96:97], v[96:97], v[68:69], -v[129:130]
	v_fma_f64 v[98:99], v[98:99], v[68:69], v[131:132]
	v_fma_f64 v[100:101], v[100:101], v[84:85], -v[133:134]
	v_fma_f64 v[102:103], v[102:103], v[84:85], v[135:136]
	v_fma_f64 v[104:105], v[104:105], v[80:81], -v[137:138]
	v_fma_f64 v[106:107], v[106:107], v[80:81], v[139:140]
	v_fma_f64 v[108:109], v[108:109], v[76:77], -v[141:142]
	v_fma_f64 v[110:111], v[110:111], v[76:77], v[143:144]
	s_waitcnt vmcnt(1) lgkmcnt(2)
	v_mul_f64 v[125:126], v[114:115], v[62:63]
	v_mul_f64 v[127:128], v[112:113], v[62:63]
	s_waitcnt vmcnt(0) lgkmcnt(1)
	v_mul_f64 v[129:130], v[118:119], v[58:59]
	v_mul_f64 v[131:132], v[116:117], v[58:59]
	v_add_f64 v[133:134], v[120:121], -v[92:93]
	v_add_f64 v[135:136], v[122:123], -v[94:95]
	v_add_f64 v[92:93], v[120:121], v[92:93]
	v_add_f64 v[94:95], v[122:123], v[94:95]
	;; [unrolled: 1-line block ×4, first 2 shown]
	v_add_f64 v[137:138], v[96:97], -v[100:101]
	v_add_f64 v[139:140], v[98:99], -v[102:103]
	v_add_f64 v[141:142], v[104:105], v[108:109]
	v_add_f64 v[143:144], v[106:107], v[110:111]
	v_add_f64 v[104:105], v[104:105], -v[108:109]
	v_add_f64 v[106:107], v[106:107], -v[110:111]
	v_fma_f64 v[112:113], v[112:113], v[60:61], -v[125:126]
	v_fma_f64 v[114:115], v[114:115], v[60:61], v[127:128]
	v_fma_f64 v[116:117], v[116:117], v[56:57], -v[129:130]
	v_fma_f64 v[118:119], v[118:119], v[56:57], v[131:132]
	v_mul_f64 v[108:109], v[133:134], s[0:1]
	v_mul_f64 v[110:111], v[135:136], s[0:1]
	s_mov_b32 s1, 0xbfe491b7
	s_waitcnt lgkmcnt(0)
	v_fma_f64 v[125:126], v[92:93], s[16:17], v[88:89]
	v_fma_f64 v[127:128], v[94:95], s[16:17], v[90:91]
	;; [unrolled: 1-line block ×4, first 2 shown]
	v_mul_f64 v[145:146], v[137:138], s[10:11]
	v_mul_f64 v[147:148], v[139:140], s[10:11]
	v_fma_f64 v[149:150], v[141:142], s[16:17], v[88:89]
	v_fma_f64 v[151:152], v[143:144], s[16:17], v[90:91]
	v_mul_f64 v[153:154], v[139:140], s[0:1]
	v_mul_f64 v[155:156], v[137:138], s[0:1]
	s_mov_b32 s16, 0x7e0b738b
	s_mov_b32 s17, 0x3fc63a1a
	v_add_f64 v[157:158], v[112:113], v[116:117]
	v_add_f64 v[159:160], v[114:115], v[118:119]
	;; [unrolled: 1-line block ×4, first 2 shown]
	v_add_f64 v[112:113], v[112:113], -v[116:117]
	v_add_f64 v[114:115], v[114:115], -v[118:119]
	v_fma_f64 v[108:109], v[104:105], s[10:11], v[108:109]
	v_fma_f64 v[110:111], v[106:107], s[10:11], v[110:111]
	;; [unrolled: 1-line block ×6, first 2 shown]
	v_fma_f64 v[129:130], v[104:105], s[0:1], -v[145:146]
	v_fma_f64 v[131:132], v[106:107], s[0:1], -v[147:148]
	v_fma_f64 v[145:146], v[120:121], s[16:17], v[149:150]
	v_fma_f64 v[147:148], v[122:123], s[16:17], v[151:152]
	;; [unrolled: 1-line block ×4, first 2 shown]
	v_add_f64 v[153:154], v[137:138], v[133:134]
	v_add_f64 v[155:156], v[139:140], v[135:136]
	;; [unrolled: 1-line block ×8, first 2 shown]
	s_mov_b32 s0, 0x748a0bf8
	v_fma_f64 v[108:109], v[112:113], s[2:3], v[108:109]
	v_fma_f64 v[110:111], v[114:115], s[2:3], v[110:111]
	s_mov_b32 s10, 0x42522d1b
	v_fma_f64 v[116:117], v[157:158], -0.5, v[116:117]
	v_fma_f64 v[118:119], v[159:160], -0.5, v[118:119]
	;; [unrolled: 1-line block ×4, first 2 shown]
	v_fma_f64 v[129:130], v[112:113], s[2:3], v[129:130]
	v_fma_f64 v[131:132], v[114:115], s[2:3], v[131:132]
	v_fma_f64 v[145:146], v[157:158], -0.5, v[145:146]
	v_fma_f64 v[147:148], v[159:160], -0.5, v[147:148]
	v_fma_f64 v[114:115], v[114:115], s[8:9], v[149:150]
	v_fma_f64 v[112:113], v[112:113], s[8:9], v[151:152]
	s_mov_b32 s1, 0x3fd5e3a8
	s_mov_b32 s11, 0xbfee11f6
	v_add_f64 v[149:150], v[153:154], -v[104:105]
	v_add_f64 v[151:152], v[155:156], -v[106:107]
	v_fma_f64 v[153:154], v[175:176], -0.5, v[171:172]
	v_fma_f64 v[155:156], v[177:178], -0.5, v[173:174]
	v_add_f64 v[96:97], v[96:97], v[161:162]
	v_add_f64 v[98:99], v[98:99], v[163:164]
	v_fma_f64 v[137:138], v[137:138], s[0:1], v[108:109]
	v_fma_f64 v[139:140], v[139:140], s[0:1], v[110:111]
	;; [unrolled: 1-line block ×12, first 2 shown]
	v_mul_f64 v[104:105], v[149:150], s[2:3]
	v_mul_f64 v[131:132], v[151:152], s[2:3]
	v_add_f64 v[96:97], v[100:101], v[96:97]
	v_add_f64 v[98:99], v[102:103], v[98:99]
	v_fma_f64 v[100:101], v[151:152], s[2:3], v[153:154]
	v_fma_f64 v[102:103], v[149:150], s[8:9], v[155:156]
	v_add_f64 v[116:117], v[139:140], v[108:109]
	v_add_f64 v[118:119], v[110:111], -v[137:138]
	v_add_f64 v[108:109], v[127:128], v[92:93]
	v_add_f64 v[110:111], v[94:95], -v[125:126]
	;; [unrolled: 2-line block ×3, first 2 shown]
	v_add_f64 v[88:89], v[88:89], v[96:97]
	v_add_f64 v[90:91], v[90:91], v[98:99]
	v_fma_f64 v[92:93], v[131:132], -2.0, v[100:101]
	v_fma_f64 v[94:95], v[104:105], 2.0, v[102:103]
	v_fma_f64 v[120:121], v[139:140], -2.0, v[116:117]
	v_fma_f64 v[122:123], v[137:138], 2.0, v[118:119]
	;; [unrolled: 2-line block ×4, first 2 shown]
	ds_write_b128 v167, v[88:91]
	ds_write_b128 v165, v[116:119] offset:816
	ds_write_b128 v165, v[100:103] offset:2448
	;; [unrolled: 1-line block ×8, first 2 shown]
	s_waitcnt lgkmcnt(0)
	s_barrier
	buffer_gl0_inv
	s_and_saveexec_b32 s1, vcc_lo
	s_cbranch_execz .LBB0_9
; %bb.8:
	v_lshlrev_b32_e32 v125, 4, v207
	ds_read_b128 v[127:130], v167
	v_add_co_u32 v125, s0, s12, v125
	v_add_co_ci_u32_e64 v126, null, s13, 0, s0
	v_add_co_u32 v139, s0, 0x1cb0, v125
	v_add_co_ci_u32_e64 v140, s0, 0, v126, s0
	v_add_co_u32 v131, s0, 0x1800, v125
	v_add_co_ci_u32_e64 v132, s0, 0, v126, s0
	global_load_dwordx4 v[131:134], v[131:132], off offset:1200
	s_waitcnt vmcnt(0) lgkmcnt(0)
	v_mul_f64 v[135:136], v[129:130], v[133:134]
	v_fma_f64 v[135:136], v[127:128], v[131:132], -v[135:136]
	v_mul_f64 v[127:128], v[127:128], v[133:134]
	v_fma_f64 v[137:138], v[129:130], v[131:132], v[127:128]
	global_load_dwordx4 v[131:134], v[139:140], off offset:432
	ds_write_b128 v167, v[135:138]
	ds_read_b128 v[127:130], v165 offset:432
	s_waitcnt vmcnt(0) lgkmcnt(0)
	v_mul_f64 v[135:136], v[129:130], v[133:134]
	v_fma_f64 v[135:136], v[127:128], v[131:132], -v[135:136]
	v_mul_f64 v[127:128], v[127:128], v[133:134]
	v_fma_f64 v[137:138], v[129:130], v[131:132], v[127:128]
	global_load_dwordx4 v[131:134], v[139:140], off offset:864
	ds_read_b128 v[127:130], v165 offset:864
	ds_write_b128 v165, v[135:138] offset:432
	s_waitcnt vmcnt(0) lgkmcnt(1)
	v_mul_f64 v[135:136], v[129:130], v[133:134]
	v_fma_f64 v[135:136], v[127:128], v[131:132], -v[135:136]
	v_mul_f64 v[127:128], v[127:128], v[133:134]
	v_fma_f64 v[137:138], v[129:130], v[131:132], v[127:128]
	global_load_dwordx4 v[131:134], v[139:140], off offset:1296
	ds_read_b128 v[127:130], v165 offset:1296
	ds_write_b128 v165, v[135:138] offset:864
	s_waitcnt vmcnt(0) lgkmcnt(1)
	v_mul_f64 v[135:136], v[129:130], v[133:134]
	v_fma_f64 v[135:136], v[127:128], v[131:132], -v[135:136]
	v_mul_f64 v[127:128], v[127:128], v[133:134]
	v_fma_f64 v[137:138], v[129:130], v[131:132], v[127:128]
	global_load_dwordx4 v[131:134], v[139:140], off offset:1728
	ds_read_b128 v[127:130], v165 offset:1728
	v_add_co_u32 v139, s0, 0x2000, v125
	v_add_co_ci_u32_e64 v140, s0, 0, v126, s0
	ds_write_b128 v165, v[135:138] offset:1296
	s_waitcnt vmcnt(0) lgkmcnt(1)
	v_mul_f64 v[135:136], v[129:130], v[133:134]
	v_fma_f64 v[135:136], v[127:128], v[131:132], -v[135:136]
	v_mul_f64 v[127:128], v[127:128], v[133:134]
	v_fma_f64 v[137:138], v[129:130], v[131:132], v[127:128]
	global_load_dwordx4 v[131:134], v[139:140], off offset:1312
	ds_read_b128 v[127:130], v165 offset:2160
	ds_write_b128 v165, v[135:138] offset:1728
	s_waitcnt vmcnt(0) lgkmcnt(1)
	v_mul_f64 v[135:136], v[129:130], v[133:134]
	v_fma_f64 v[135:136], v[127:128], v[131:132], -v[135:136]
	v_mul_f64 v[127:128], v[127:128], v[133:134]
	v_fma_f64 v[137:138], v[129:130], v[131:132], v[127:128]
	global_load_dwordx4 v[131:134], v[139:140], off offset:1744
	ds_read_b128 v[127:130], v165 offset:2592
	v_add_co_u32 v139, s0, 0x2800, v125
	v_add_co_ci_u32_e64 v140, s0, 0, v126, s0
	ds_write_b128 v165, v[135:138] offset:2160
	s_waitcnt vmcnt(0) lgkmcnt(1)
	v_mul_f64 v[135:136], v[129:130], v[133:134]
	v_fma_f64 v[135:136], v[127:128], v[131:132], -v[135:136]
	v_mul_f64 v[127:128], v[127:128], v[133:134]
	v_fma_f64 v[137:138], v[129:130], v[131:132], v[127:128]
	global_load_dwordx4 v[131:134], v[139:140], off offset:128
	ds_read_b128 v[127:130], v165 offset:3024
	ds_write_b128 v165, v[135:138] offset:2592
	s_waitcnt vmcnt(0) lgkmcnt(1)
	v_mul_f64 v[135:136], v[129:130], v[133:134]
	v_fma_f64 v[135:136], v[127:128], v[131:132], -v[135:136]
	v_mul_f64 v[127:128], v[127:128], v[133:134]
	v_fma_f64 v[137:138], v[129:130], v[131:132], v[127:128]
	global_load_dwordx4 v[131:134], v[139:140], off offset:560
	ds_read_b128 v[127:130], v165 offset:3456
	;; [unrolled: 8-line block ×5, first 2 shown]
	ds_write_b128 v165, v[135:138] offset:4320
	s_waitcnt vmcnt(0) lgkmcnt(1)
	v_mul_f64 v[135:136], v[129:130], v[133:134]
	v_fma_f64 v[135:136], v[127:128], v[131:132], -v[135:136]
	v_mul_f64 v[127:128], v[127:128], v[133:134]
	v_fma_f64 v[137:138], v[129:130], v[131:132], v[127:128]
	ds_read_b128 v[127:130], v165 offset:5184
	ds_write_b128 v165, v[135:138] offset:4752
	v_add_co_u32 v137, s0, 0x3000, v125
	v_add_co_ci_u32_e64 v138, s0, 0, v126, s0
	global_load_dwordx4 v[131:134], v[137:138], off offset:240
	s_waitcnt vmcnt(0) lgkmcnt(1)
	v_mul_f64 v[125:126], v[129:130], v[133:134]
	v_fma_f64 v[125:126], v[127:128], v[131:132], -v[125:126]
	v_mul_f64 v[127:128], v[127:128], v[133:134]
	v_fma_f64 v[127:128], v[129:130], v[131:132], v[127:128]
	global_load_dwordx4 v[129:132], v[137:138], off offset:672
	ds_write_b128 v165, v[125:128] offset:5184
	ds_read_b128 v[125:128], v165 offset:5616
	s_waitcnt vmcnt(0) lgkmcnt(0)
	v_mul_f64 v[133:134], v[127:128], v[131:132]
	v_fma_f64 v[133:134], v[125:126], v[129:130], -v[133:134]
	v_mul_f64 v[125:126], v[125:126], v[131:132]
	v_fma_f64 v[135:136], v[127:128], v[129:130], v[125:126]
	global_load_dwordx4 v[129:132], v[137:138], off offset:1104
	ds_read_b128 v[125:128], v165 offset:6048
	ds_write_b128 v165, v[133:136] offset:5616
	s_waitcnt vmcnt(0) lgkmcnt(1)
	v_mul_f64 v[133:134], v[127:128], v[131:132]
	v_fma_f64 v[133:134], v[125:126], v[129:130], -v[133:134]
	v_mul_f64 v[125:126], v[125:126], v[131:132]
	v_fma_f64 v[135:136], v[127:128], v[129:130], v[125:126]
	global_load_dwordx4 v[129:132], v[137:138], off offset:1536
	ds_read_b128 v[125:128], v165 offset:6480
	ds_write_b128 v165, v[133:136] offset:6048
	;; [unrolled: 8-line block ×3, first 2 shown]
	s_waitcnt vmcnt(0) lgkmcnt(1)
	v_mul_f64 v[133:134], v[127:128], v[131:132]
	v_fma_f64 v[133:134], v[125:126], v[129:130], -v[133:134]
	v_mul_f64 v[125:126], v[125:126], v[131:132]
	v_fma_f64 v[135:136], v[127:128], v[129:130], v[125:126]
	ds_write_b128 v165, v[133:136] offset:6912
.LBB0_9:
	s_or_b32 exec_lo, exec_lo, s1
	s_waitcnt lgkmcnt(0)
	s_barrier
	buffer_gl0_inv
	s_and_saveexec_b32 s0, vcc_lo
	s_cbranch_execz .LBB0_11
; %bb.10:
	ds_read_b128 v[88:91], v167
	ds_read_b128 v[116:119], v167 offset:432
	ds_read_b128 v[112:115], v167 offset:864
	;; [unrolled: 1-line block ×16, first 2 shown]
.LBB0_11:
	s_or_b32 exec_lo, exec_lo, s0
	s_waitcnt lgkmcnt(0)
	s_barrier
	buffer_gl0_inv
	s_and_saveexec_b32 s33, vcc_lo
	s_cbranch_execz .LBB0_13
; %bb.12:
	v_add_f64 v[125:126], v[90:91], v[118:119]
	v_add_f64 v[127:128], v[88:89], v[116:117]
	v_add_f64 v[157:158], v[116:117], -v[0:1]
	v_add_f64 v[159:160], v[118:119], -v[2:3]
	s_mov_b32 s2, 0xacd6c6b4
	s_mov_b32 s3, 0xbfc7851a
	v_add_f64 v[133:134], v[112:113], -v[4:5]
	v_add_f64 v[161:162], v[118:119], v[2:3]
	v_add_f64 v[131:132], v[114:115], -v[6:7]
	v_add_f64 v[163:164], v[116:117], v[0:1]
	s_mov_b32 s8, 0x5d8e7cdc
	s_mov_b32 s0, 0x7faef3
	;; [unrolled: 1-line block ×4, first 2 shown]
	v_add_f64 v[135:136], v[100:101], -v[8:9]
	v_add_f64 v[139:140], v[114:115], v[6:7]
	v_add_f64 v[137:138], v[112:113], v[4:5]
	s_mov_b32 s16, 0x4363dd80
	s_mov_b32 s10, 0x370991
	s_mov_b32 s17, 0xbfe0d888
	s_mov_b32 s11, 0x3fedd6d0
	v_add_f64 v[143:144], v[108:109], -v[12:13]
	v_add_f64 v[125:126], v[125:126], v[114:115]
	v_add_f64 v[127:128], v[127:128], v[112:113]
	v_mul_f64 v[141:142], v[157:158], s[2:3]
	v_mul_f64 v[145:146], v[159:160], s[2:3]
	v_add_f64 v[114:115], v[102:103], -v[10:11]
	v_add_f64 v[153:154], v[102:103], v[10:11]
	v_mul_f64 v[155:156], v[133:134], s[8:9]
	v_add_f64 v[151:152], v[100:101], v[8:9]
	v_mul_f64 v[171:172], v[131:132], s[8:9]
	s_mov_b32 s22, 0x2a9d6da3
	s_mov_b32 s18, 0x910ea3b9
	;; [unrolled: 1-line block ×4, first 2 shown]
	v_add_f64 v[118:119], v[120:121], -v[28:29]
	v_mul_f64 v[183:184], v[135:136], s[16:17]
	v_add_f64 v[116:117], v[122:123], v[30:31]
	v_add_f64 v[112:113], v[98:99], v[18:19]
	s_mov_b32 s26, 0x6c9a05f6
	s_mov_b32 s20, 0x75d4884
	;; [unrolled: 1-line block ×5, first 2 shown]
	v_add_f64 v[125:126], v[125:126], v[102:103]
	v_add_f64 v[127:128], v[127:128], v[100:101]
	v_fma_f64 v[173:174], v[161:162], s[0:1], v[141:142]
	v_fma_f64 v[175:176], v[163:164], s[0:1], -v[145:146]
	v_fma_f64 v[177:178], v[161:162], s[0:1], -v[141:142]
	v_add_f64 v[141:142], v[110:111], -v[14:15]
	v_mul_f64 v[185:186], v[114:115], s[16:17]
	v_fma_f64 v[187:188], v[163:164], s[0:1], v[145:146]
	v_fma_f64 v[189:190], v[139:140], s[10:11], v[155:156]
	v_fma_f64 v[191:192], v[137:138], s[10:11], -v[171:172]
	v_fma_f64 v[193:194], v[139:140], s[10:11], -v[155:156]
	v_add_f64 v[100:101], v[120:121], v[28:29]
	v_add_f64 v[102:103], v[122:123], -v[30:31]
	v_add_f64 v[155:156], v[98:99], -v[18:19]
	;; [unrolled: 1-line block ×3, first 2 shown]
	s_mov_b32 s30, 0x7c9e640b
	s_mov_b32 s25, 0xbfe348c8
	s_mov_b32 s31, 0x3feca52d
	s_mov_b32 s38, 0x923c349f
	s_mov_b32 s28, 0x2b2883cd
	s_mov_b32 s39, 0xbfeec746
	s_mov_b32 s29, 0x3fdc86fa
	v_add_f64 v[125:126], v[125:126], v[110:111]
	v_add_f64 v[127:128], v[127:128], v[108:109]
	;; [unrolled: 1-line block ×5, first 2 shown]
	s_mov_b32 s36, 0xc61f0d01
	s_mov_b32 s37, 0xbfd183b1
	;; [unrolled: 1-line block ×17, first 2 shown]
	v_add_f64 v[125:126], v[125:126], v[98:99]
	v_add_f64 v[127:128], v[127:128], v[96:97]
	v_add_f64 v[98:99], v[189:190], v[173:174]
	v_add_f64 v[173:174], v[191:192], v[175:176]
	v_fma_f64 v[175:176], v[151:152], s[18:19], -v[185:186]
	v_add_f64 v[177:178], v[193:194], v[177:178]
	s_mov_b32 s55, 0x3fe0d888
	s_mov_b32 s54, s16
	v_add_f64 v[129:130], v[125:126], v[94:95]
	v_add_f64 v[127:128], v[127:128], v[92:93]
	v_add_f64 v[125:126], v[104:105], -v[24:25]
	v_add_f64 v[173:174], v[175:176], v[173:174]
	v_add_f64 v[147:148], v[129:130], v[106:107]
	;; [unrolled: 1-line block ×3, first 2 shown]
	v_add_f64 v[127:128], v[92:93], -v[20:21]
	v_add_f64 v[129:130], v[96:97], -v[16:17]
	v_add_f64 v[104:105], v[104:105], v[24:25]
	v_add_f64 v[179:180], v[147:148], v[122:123]
	;; [unrolled: 1-line block ×8, first 2 shown]
	v_mul_f64 v[92:93], v[143:144], s[22:23]
	v_fma_f64 v[94:95], v[137:138], s[10:11], v[171:172]
	v_add_f64 v[96:97], v[88:89], v[187:188]
	v_fma_f64 v[171:172], v[153:154], s[18:19], v[183:184]
	v_add_f64 v[108:109], v[106:107], v[26:27]
	v_add_f64 v[106:107], v[106:107], -v[26:27]
	v_add_f64 v[30:31], v[179:180], v[30:31]
	v_add_f64 v[28:29], v[181:182], v[28:29]
	v_mul_f64 v[179:180], v[141:142], s[22:23]
	v_fma_f64 v[181:182], v[153:154], s[18:19], -v[183:184]
	v_fma_f64 v[183:184], v[151:152], s[18:19], v[185:186]
	v_add_f64 v[94:95], v[94:95], v[96:97]
	v_mul_f64 v[96:97], v[129:130], s[26:27]
	v_add_f64 v[98:99], v[171:172], v[98:99]
	v_fma_f64 v[171:172], v[147:148], s[20:21], v[92:93]
	v_fma_f64 v[92:93], v[147:148], s[20:21], -v[92:93]
	v_add_f64 v[185:186], v[30:31], v[26:27]
	v_add_f64 v[187:188], v[28:29], v[24:25]
	v_fma_f64 v[175:176], v[122:123], s[20:21], -v[179:180]
	v_add_f64 v[177:178], v[181:182], v[177:178]
	v_mul_f64 v[181:182], v[155:156], s[26:27]
	v_fma_f64 v[179:180], v[122:123], s[20:21], v[179:180]
	v_add_f64 v[94:95], v[183:184], v[94:95]
	v_mul_f64 v[183:184], v[127:128], s[30:31]
	v_add_f64 v[98:99], v[171:172], v[98:99]
	v_fma_f64 v[171:172], v[112:113], s[24:25], v[96:97]
	v_fma_f64 v[96:97], v[112:113], s[24:25], -v[96:97]
	v_add_f64 v[22:23], v[185:186], v[22:23]
	v_add_f64 v[20:21], v[187:188], v[20:21]
	;; [unrolled: 1-line block ×4, first 2 shown]
	v_fma_f64 v[175:176], v[149:150], s[24:25], -v[181:182]
	v_mul_f64 v[177:178], v[145:146], s[30:31]
	v_fma_f64 v[181:182], v[149:150], s[24:25], v[181:182]
	v_add_f64 v[94:95], v[179:180], v[94:95]
	v_mul_f64 v[179:180], v[125:126], s[38:39]
	v_add_f64 v[98:99], v[171:172], v[98:99]
	v_fma_f64 v[171:172], v[120:121], s[28:29], v[183:184]
	v_fma_f64 v[183:184], v[120:121], s[28:29], -v[183:184]
	v_add_f64 v[18:19], v[22:23], v[18:19]
	v_add_f64 v[16:17], v[20:21], v[16:17]
	;; [unrolled: 1-line block ×4, first 2 shown]
	v_fma_f64 v[175:176], v[110:111], s[28:29], -v[177:178]
	v_mul_f64 v[96:97], v[106:107], s[38:39]
	v_fma_f64 v[177:178], v[110:111], s[28:29], v[177:178]
	v_add_f64 v[94:95], v[181:182], v[94:95]
	v_mul_f64 v[181:182], v[118:119], s[42:43]
	v_add_f64 v[98:99], v[171:172], v[98:99]
	v_mul_f64 v[171:172], v[102:103], s[42:43]
	v_add_f64 v[92:93], v[183:184], v[92:93]
	v_add_f64 v[173:174], v[175:176], v[173:174]
	v_fma_f64 v[175:176], v[108:109], s[36:37], v[179:180]
	v_fma_f64 v[183:184], v[104:105], s[36:37], -v[96:97]
	v_fma_f64 v[179:180], v[108:109], s[36:37], -v[179:180]
	v_add_f64 v[94:95], v[177:178], v[94:95]
	v_mul_f64 v[177:178], v[157:158], s[16:17]
	v_fma_f64 v[96:97], v[104:105], s[36:37], v[96:97]
	v_fma_f64 v[24:25], v[116:117], s[34:35], v[181:182]
	v_fma_f64 v[28:29], v[100:101], s[34:35], -v[171:172]
	v_fma_f64 v[171:172], v[100:101], s[34:35], v[171:172]
	v_add_f64 v[26:27], v[175:176], v[98:99]
	v_mul_f64 v[98:99], v[159:160], s[16:17]
	v_add_f64 v[30:31], v[183:184], v[173:174]
	v_mul_f64 v[173:174], v[133:134], s[30:31]
	;; [unrolled: 2-line block ×3, first 2 shown]
	v_fma_f64 v[179:180], v[116:117], s[34:35], -v[181:182]
	v_add_f64 v[94:95], v[96:97], v[94:95]
	v_fma_f64 v[96:97], v[161:162], s[18:19], v[177:178]
	v_fma_f64 v[177:178], v[161:162], s[18:19], -v[177:178]
	v_add_f64 v[26:27], v[24:25], v[26:27]
	v_fma_f64 v[181:182], v[163:164], s[18:19], -v[98:99]
	v_add_f64 v[24:25], v[28:29], v[30:31]
	v_fma_f64 v[183:184], v[139:140], s[28:29], v[173:174]
	v_fma_f64 v[98:99], v[163:164], s[18:19], v[98:99]
	v_fma_f64 v[173:174], v[139:140], s[28:29], -v[173:174]
	v_add_f64 v[30:31], v[179:180], v[92:93]
	v_add_f64 v[28:29], v[171:172], v[94:95]
	;; [unrolled: 1-line block ×3, first 2 shown]
	v_fma_f64 v[92:93], v[137:138], s[28:29], -v[175:176]
	v_mul_f64 v[171:172], v[135:136], s[40:41]
	v_fma_f64 v[175:176], v[137:138], s[28:29], v[175:176]
	v_add_f64 v[177:178], v[90:91], v[177:178]
	v_mul_f64 v[179:180], v[114:115], s[40:41]
	v_add_f64 v[94:95], v[88:89], v[181:182]
	v_add_f64 v[98:99], v[88:89], v[98:99]
	v_add_f64 v[96:97], v[183:184], v[96:97]
	v_mul_f64 v[183:184], v[135:136], s[44:45]
	v_add_f64 v[173:174], v[173:174], v[177:178]
	v_mul_f64 v[177:178], v[143:144], s[46:47]
	v_add_f64 v[92:93], v[92:93], v[94:95]
	v_fma_f64 v[94:95], v[153:154], s[34:35], v[171:172]
	v_fma_f64 v[171:172], v[153:154], s[34:35], -v[171:172]
	v_add_f64 v[98:99], v[175:176], v[98:99]
	v_fma_f64 v[175:176], v[151:152], s[34:35], -v[179:180]
	v_fma_f64 v[179:180], v[151:152], s[34:35], v[179:180]
	v_add_f64 v[94:95], v[94:95], v[96:97]
	v_mul_f64 v[96:97], v[141:142], s[46:47]
	v_add_f64 v[171:172], v[171:172], v[173:174]
	v_add_f64 v[92:93], v[175:176], v[92:93]
	v_fma_f64 v[175:176], v[147:148], s[24:25], v[177:178]
	v_add_f64 v[98:99], v[179:180], v[98:99]
	v_mul_f64 v[179:180], v[129:130], s[44:45]
	v_fma_f64 v[177:178], v[147:148], s[24:25], -v[177:178]
	v_fma_f64 v[173:174], v[122:123], s[24:25], -v[96:97]
	v_fma_f64 v[96:97], v[122:123], s[24:25], v[96:97]
	v_add_f64 v[94:95], v[175:176], v[94:95]
	v_mul_f64 v[175:176], v[155:156], s[44:45]
	v_add_f64 v[171:172], v[177:178], v[171:172]
	v_add_f64 v[92:93], v[173:174], v[92:93]
	v_fma_f64 v[173:174], v[112:113], s[10:11], v[179:180]
	v_fma_f64 v[179:180], v[112:113], s[10:11], -v[179:180]
	v_add_f64 v[96:97], v[96:97], v[98:99]
	v_fma_f64 v[177:178], v[149:150], s[10:11], -v[175:176]
	v_mul_f64 v[98:99], v[125:126], s[22:23]
	v_fma_f64 v[175:176], v[149:150], s[10:11], v[175:176]
	v_add_f64 v[94:95], v[173:174], v[94:95]
	v_mul_f64 v[173:174], v[127:128], s[2:3]
	v_add_f64 v[171:172], v[179:180], v[171:172]
	v_add_f64 v[92:93], v[177:178], v[92:93]
	v_fma_f64 v[179:180], v[108:109], s[20:21], v[98:99]
	v_add_f64 v[96:97], v[175:176], v[96:97]
	v_mul_f64 v[175:176], v[106:107], s[22:23]
	v_fma_f64 v[98:99], v[108:109], s[20:21], -v[98:99]
	v_fma_f64 v[177:178], v[120:121], s[0:1], v[173:174]
	v_fma_f64 v[173:174], v[120:121], s[0:1], -v[173:174]
	v_add_f64 v[94:95], v[177:178], v[94:95]
	v_mul_f64 v[177:178], v[145:146], s[2:3]
	v_add_f64 v[171:172], v[173:174], v[171:172]
	v_mul_f64 v[173:174], v[118:119], s[38:39]
	v_add_f64 v[94:95], v[179:180], v[94:95]
	v_fma_f64 v[181:182], v[110:111], s[0:1], -v[177:178]
	v_fma_f64 v[177:178], v[110:111], s[0:1], v[177:178]
	v_fma_f64 v[179:180], v[104:105], s[20:21], -v[175:176]
	v_fma_f64 v[175:176], v[104:105], s[20:21], v[175:176]
	v_add_f64 v[98:99], v[98:99], v[171:172]
	v_add_f64 v[92:93], v[181:182], v[92:93]
	;; [unrolled: 1-line block ×3, first 2 shown]
	v_mul_f64 v[177:178], v[102:103], s[38:39]
	v_mul_f64 v[181:182], v[131:132], s[48:49]
	v_add_f64 v[92:93], v[179:180], v[92:93]
	v_fma_f64 v[179:180], v[116:117], s[36:37], v[173:174]
	v_fma_f64 v[171:172], v[100:101], s[36:37], -v[177:178]
	v_add_f64 v[96:97], v[175:176], v[96:97]
	v_fma_f64 v[173:174], v[116:117], s[36:37], -v[173:174]
	v_fma_f64 v[175:176], v[100:101], s[36:37], v[177:178]
	v_mul_f64 v[177:178], v[159:160], s[26:27]
	v_add_f64 v[94:95], v[179:180], v[94:95]
	v_add_f64 v[92:93], v[171:172], v[92:93]
	v_mul_f64 v[171:172], v[157:158], s[26:27]
	v_add_f64 v[98:99], v[173:174], v[98:99]
	v_add_f64 v[96:97], v[175:176], v[96:97]
	v_mul_f64 v[173:174], v[133:134], s[48:49]
	v_fma_f64 v[179:180], v[163:164], s[24:25], -v[177:178]
	v_fma_f64 v[175:176], v[161:162], s[24:25], v[171:172]
	v_fma_f64 v[171:172], v[161:162], s[24:25], -v[171:172]
	v_fma_f64 v[20:21], v[139:140], s[36:37], v[173:174]
	v_fma_f64 v[173:174], v[139:140], s[36:37], -v[173:174]
	v_add_f64 v[22:23], v[90:91], v[175:176]
	v_add_f64 v[175:176], v[88:89], v[179:180]
	v_fma_f64 v[179:180], v[137:138], s[36:37], -v[181:182]
	v_add_f64 v[171:172], v[90:91], v[171:172]
	v_add_f64 v[20:21], v[20:21], v[22:23]
	;; [unrolled: 1-line block ×3, first 2 shown]
	v_fma_f64 v[175:176], v[153:154], s[10:11], v[183:184]
	v_mul_f64 v[179:180], v[114:115], s[44:45]
	v_add_f64 v[171:172], v[173:174], v[171:172]
	v_fma_f64 v[173:174], v[163:164], s[24:25], v[177:178]
	v_fma_f64 v[177:178], v[137:138], s[36:37], v[181:182]
	v_add_f64 v[20:21], v[175:176], v[20:21]
	v_fma_f64 v[175:176], v[151:152], s[10:11], -v[179:180]
	v_add_f64 v[173:174], v[88:89], v[173:174]
	v_add_f64 v[22:23], v[175:176], v[22:23]
	v_mul_f64 v[175:176], v[143:144], s[16:17]
	v_add_f64 v[173:174], v[177:178], v[173:174]
	v_fma_f64 v[177:178], v[153:154], s[10:11], -v[183:184]
	v_fma_f64 v[185:186], v[147:148], s[18:19], v[175:176]
	v_fma_f64 v[175:176], v[147:148], s[18:19], -v[175:176]
	v_add_f64 v[171:172], v[177:178], v[171:172]
	v_fma_f64 v[177:178], v[151:152], s[10:11], v[179:180]
	v_add_f64 v[20:21], v[185:186], v[20:21]
	v_mul_f64 v[185:186], v[141:142], s[16:17]
	v_add_f64 v[171:172], v[175:176], v[171:172]
	v_add_f64 v[173:174], v[177:178], v[173:174]
	v_mul_f64 v[177:178], v[125:126], s[2:3]
	v_fma_f64 v[187:188], v[122:123], s[18:19], -v[185:186]
	v_fma_f64 v[175:176], v[122:123], s[18:19], v[185:186]
	v_add_f64 v[185:186], v[18:19], v[14:15]
	v_add_f64 v[22:23], v[187:188], v[22:23]
	v_mul_f64 v[187:188], v[129:130], s[42:43]
	v_add_f64 v[173:174], v[175:176], v[173:174]
	v_add_f64 v[10:11], v[185:186], v[10:11]
	v_mul_f64 v[185:186], v[159:160], s[40:41]
	v_fma_f64 v[189:190], v[112:113], s[34:35], v[187:188]
	v_fma_f64 v[175:176], v[112:113], s[34:35], -v[187:188]
	v_mul_f64 v[187:188], v[157:158], s[40:41]
	v_add_f64 v[6:7], v[10:11], v[6:7]
	v_add_f64 v[20:21], v[189:190], v[20:21]
	v_mul_f64 v[189:190], v[155:156], s[42:43]
	v_add_f64 v[171:172], v[175:176], v[171:172]
	v_fma_f64 v[175:176], v[108:109], s[0:1], v[177:178]
	v_fma_f64 v[177:178], v[108:109], s[0:1], -v[177:178]
	v_fma_f64 v[191:192], v[149:150], s[34:35], -v[189:190]
	v_fma_f64 v[179:180], v[149:150], s[34:35], v[189:190]
	v_mul_f64 v[189:190], v[159:160], s[50:51]
	v_add_f64 v[22:23], v[191:192], v[22:23]
	v_mul_f64 v[191:192], v[127:128], s[50:51]
	v_add_f64 v[173:174], v[179:180], v[173:174]
	v_mul_f64 v[179:180], v[106:107], s[2:3]
	v_fma_f64 v[197:198], v[163:164], s[20:21], v[189:190]
	v_fma_f64 v[189:190], v[163:164], s[20:21], -v[189:190]
	v_fma_f64 v[193:194], v[120:121], s[20:21], v[191:192]
	v_fma_f64 v[181:182], v[120:121], s[20:21], -v[191:192]
	v_add_f64 v[197:198], v[88:89], v[197:198]
	v_add_f64 v[189:190], v[88:89], v[189:190]
	;; [unrolled: 1-line block ×3, first 2 shown]
	v_mul_f64 v[193:194], v[145:146], s[50:51]
	v_add_f64 v[171:172], v[181:182], v[171:172]
	v_mul_f64 v[181:182], v[118:119], s[30:31]
	v_add_f64 v[20:21], v[175:176], v[20:21]
	v_fma_f64 v[195:196], v[110:111], s[20:21], -v[193:194]
	v_fma_f64 v[183:184], v[110:111], s[20:21], v[193:194]
	v_fma_f64 v[175:176], v[104:105], s[0:1], -v[179:180]
	v_fma_f64 v[179:180], v[104:105], s[0:1], v[179:180]
	v_add_f64 v[171:172], v[177:178], v[171:172]
	v_fma_f64 v[18:19], v[116:117], s[28:29], -v[181:182]
	v_fma_f64 v[193:194], v[163:164], s[34:35], -v[185:186]
	v_fma_f64 v[185:186], v[163:164], s[34:35], v[185:186]
	v_add_f64 v[22:23], v[195:196], v[22:23]
	v_add_f64 v[173:174], v[183:184], v[173:174]
	v_mul_f64 v[183:184], v[102:103], s[30:31]
	v_add_f64 v[18:19], v[18:19], v[171:172]
	v_add_f64 v[185:186], v[88:89], v[185:186]
	;; [unrolled: 1-line block ×3, first 2 shown]
	v_fma_f64 v[175:176], v[116:117], s[28:29], v[181:182]
	v_fma_f64 v[177:178], v[100:101], s[28:29], -v[183:184]
	v_add_f64 v[173:174], v[179:180], v[173:174]
	v_add_f64 v[179:180], v[16:17], v[12:13]
	v_fma_f64 v[181:182], v[100:101], s[28:29], v[183:184]
	v_mul_f64 v[183:184], v[157:158], s[38:39]
	v_add_f64 v[14:15], v[175:176], v[20:21]
	v_mul_f64 v[20:21], v[157:158], s[52:53]
	v_add_f64 v[12:13], v[177:178], v[22:23]
	v_mul_f64 v[22:23], v[157:158], s[50:51]
	v_mul_f64 v[157:158], v[157:158], s[44:45]
	v_add_f64 v[8:9], v[179:180], v[8:9]
	v_add_f64 v[16:17], v[181:182], v[173:174]
	v_fma_f64 v[171:172], v[161:162], s[36:37], -v[183:184]
	v_fma_f64 v[173:174], v[161:162], s[36:37], v[183:184]
	v_fma_f64 v[175:176], v[161:162], s[34:35], v[187:188]
	v_fma_f64 v[177:178], v[161:162], s[34:35], -v[187:188]
	v_mul_f64 v[187:188], v[159:160], s[52:53]
	v_fma_f64 v[179:180], v[161:162], s[28:29], v[20:21]
	v_fma_f64 v[20:21], v[161:162], s[28:29], -v[20:21]
	v_fma_f64 v[181:182], v[161:162], s[20:21], -v[22:23]
	v_fma_f64 v[22:23], v[161:162], s[20:21], v[22:23]
	v_fma_f64 v[183:184], v[161:162], s[10:11], -v[157:158]
	v_fma_f64 v[157:158], v[161:162], s[10:11], v[157:158]
	v_mul_f64 v[161:162], v[159:160], s[38:39]
	v_mul_f64 v[159:160], v[159:160], s[44:45]
	v_add_f64 v[10:11], v[8:9], v[4:5]
	v_mul_f64 v[4:5], v[133:134], s[54:55]
	v_fma_f64 v[195:196], v[163:164], s[28:29], -v[187:188]
	v_fma_f64 v[187:188], v[163:164], s[28:29], v[187:188]
	v_add_f64 v[175:176], v[90:91], v[175:176]
	v_add_f64 v[177:178], v[90:91], v[177:178]
	;; [unrolled: 1-line block ×7, first 2 shown]
	v_fma_f64 v[191:192], v[163:164], s[36:37], -v[161:162]
	v_fma_f64 v[161:162], v[163:164], s[36:37], v[161:162]
	v_fma_f64 v[199:200], v[163:164], s[10:11], v[159:160]
	v_fma_f64 v[159:160], v[163:164], s[10:11], -v[159:160]
	v_add_f64 v[163:164], v[90:91], v[171:172]
	v_fma_f64 v[8:9], v[139:140], s[18:19], -v[4:5]
	v_add_f64 v[171:172], v[90:91], v[173:174]
	v_fma_f64 v[4:5], v[139:140], s[18:19], v[4:5]
	v_add_f64 v[90:91], v[90:91], v[157:158]
	v_mul_f64 v[157:158], v[131:132], s[54:55]
	v_add_f64 v[187:188], v[88:89], v[187:188]
	v_add_f64 v[173:174], v[88:89], v[191:192]
	;; [unrolled: 1-line block ×7, first 2 shown]
	v_mul_f64 v[163:164], v[135:136], s[22:23]
	v_add_f64 v[4:5], v[4:5], v[171:172]
	v_add_f64 v[88:89], v[88:89], v[159:160]
	v_fma_f64 v[159:160], v[137:138], s[18:19], -v[157:158]
	v_fma_f64 v[157:158], v[137:138], s[18:19], v[157:158]
	v_fma_f64 v[171:172], v[153:154], s[20:21], -v[163:164]
	v_fma_f64 v[163:164], v[153:154], s[20:21], v[163:164]
	v_add_f64 v[159:160], v[159:160], v[173:174]
	v_add_f64 v[157:158], v[157:158], v[161:162]
	v_add_f64 v[8:9], v[171:172], v[8:9]
	v_add_f64 v[4:5], v[163:164], v[4:5]
	v_mul_f64 v[163:164], v[114:115], s[22:23]
	v_fma_f64 v[171:172], v[151:152], s[20:21], -v[163:164]
	v_fma_f64 v[163:164], v[151:152], s[20:21], v[163:164]
	v_add_f64 v[159:160], v[171:172], v[159:160]
	v_mul_f64 v[171:172], v[143:144], s[52:53]
	v_add_f64 v[157:158], v[163:164], v[157:158]
	v_mul_f64 v[163:164], v[133:134], s[2:3]
	v_fma_f64 v[173:174], v[147:148], s[28:29], -v[171:172]
	v_fma_f64 v[171:172], v[147:148], s[28:29], v[171:172]
	v_add_f64 v[8:9], v[173:174], v[8:9]
	v_add_f64 v[4:5], v[171:172], v[4:5]
	v_mul_f64 v[171:172], v[141:142], s[52:53]
	v_fma_f64 v[173:174], v[122:123], s[28:29], -v[171:172]
	v_fma_f64 v[171:172], v[122:123], s[28:29], v[171:172]
	v_add_f64 v[159:160], v[173:174], v[159:160]
	v_mul_f64 v[173:174], v[129:130], s[2:3]
	v_add_f64 v[157:158], v[171:172], v[157:158]
	v_mul_f64 v[171:172], v[135:136], s[48:49]
	v_fma_f64 v[199:200], v[112:113], s[0:1], -v[173:174]
	v_fma_f64 v[173:174], v[112:113], s[0:1], v[173:174]
	v_add_f64 v[8:9], v[199:200], v[8:9]
	v_add_f64 v[4:5], v[173:174], v[4:5]
	v_mul_f64 v[173:174], v[155:156], s[2:3]
	v_fma_f64 v[199:200], v[149:150], s[0:1], -v[173:174]
	v_fma_f64 v[173:174], v[149:150], s[0:1], v[173:174]
	v_add_f64 v[159:160], v[199:200], v[159:160]
	v_mul_f64 v[199:200], v[127:128], s[42:43]
	v_add_f64 v[157:158], v[173:174], v[157:158]
	v_fma_f64 v[161:162], v[120:121], s[34:35], v[199:200]
	v_fma_f64 v[201:202], v[120:121], s[34:35], -v[199:200]
	v_add_f64 v[4:5], v[161:162], v[4:5]
	v_mul_f64 v[161:162], v[145:146], s[42:43]
	v_add_f64 v[8:9], v[201:202], v[8:9]
	s_mov_b32 s43, 0x3fc7851a
	s_mov_b32 s42, s2
	v_fma_f64 v[199:200], v[110:111], s[34:35], -v[161:162]
	v_fma_f64 v[161:162], v[110:111], s[34:35], v[161:162]
	v_add_f64 v[159:160], v[199:200], v[159:160]
	v_mul_f64 v[199:200], v[125:126], s[44:45]
	v_add_f64 v[157:158], v[161:162], v[157:158]
	v_mul_f64 v[161:162], v[131:132], s[26:27]
	v_fma_f64 v[201:202], v[108:109], s[10:11], -v[199:200]
	v_fma_f64 v[199:200], v[108:109], s[10:11], v[199:200]
	v_add_f64 v[8:9], v[201:202], v[8:9]
	v_fma_f64 v[201:202], v[139:140], s[0:1], v[163:164]
	v_fma_f64 v[163:164], v[139:140], s[0:1], -v[163:164]
	v_add_f64 v[199:200], v[199:200], v[4:5]
	v_mul_f64 v[4:5], v[106:107], s[44:45]
	v_add_f64 v[175:176], v[201:202], v[175:176]
	v_add_f64 v[163:164], v[163:164], v[177:178]
	v_fma_f64 v[177:178], v[153:154], s[36:37], v[171:172]
	v_fma_f64 v[171:172], v[153:154], s[36:37], -v[171:172]
	v_fma_f64 v[201:202], v[104:105], s[10:11], -v[4:5]
	v_fma_f64 v[4:5], v[104:105], s[10:11], v[4:5]
	v_add_f64 v[175:176], v[177:178], v[175:176]
	v_add_f64 v[163:164], v[171:172], v[163:164]
	v_mul_f64 v[171:172], v[143:144], s[8:9]
	v_add_f64 v[159:160], v[201:202], v[159:160]
	v_mul_f64 v[201:202], v[131:132], s[2:3]
	v_mul_f64 v[177:178], v[114:115], s[48:49]
	v_add_f64 v[157:158], v[4:5], v[157:158]
	v_mul_f64 v[4:5], v[125:126], s[46:47]
	v_fma_f64 v[173:174], v[147:148], s[10:11], v[171:172]
	v_fma_f64 v[171:172], v[147:148], s[10:11], -v[171:172]
	v_fma_f64 v[203:204], v[137:138], s[0:1], -v[201:202]
	v_add_f64 v[173:174], v[173:174], v[175:176]
	v_fma_f64 v[175:176], v[137:138], s[0:1], v[201:202]
	v_add_f64 v[191:192], v[203:204], v[191:192]
	v_fma_f64 v[203:204], v[151:152], s[36:37], -v[177:178]
	v_fma_f64 v[177:178], v[151:152], s[36:37], v[177:178]
	v_add_f64 v[163:164], v[171:172], v[163:164]
	v_mul_f64 v[171:172], v[129:130], s[52:53]
	v_add_f64 v[175:176], v[175:176], v[185:186]
	v_mul_f64 v[185:186], v[133:134], s[26:27]
	v_add_f64 v[191:192], v[203:204], v[191:192]
	v_add_f64 v[175:176], v[177:178], v[175:176]
	v_fma_f64 v[201:202], v[139:140], s[24:25], v[185:186]
	v_fma_f64 v[185:186], v[139:140], s[24:25], -v[185:186]
	v_mul_f64 v[177:178], v[135:136], s[42:43]
	v_add_f64 v[179:180], v[201:202], v[179:180]
	v_mul_f64 v[201:202], v[141:142], s[8:9]
	v_add_f64 v[20:21], v[185:186], v[20:21]
	v_fma_f64 v[185:186], v[153:154], s[0:1], v[177:178]
	v_fma_f64 v[177:178], v[153:154], s[0:1], -v[177:178]
	v_fma_f64 v[203:204], v[122:123], s[10:11], -v[201:202]
	v_add_f64 v[179:180], v[185:186], v[179:180]
	v_mul_f64 v[185:186], v[155:156], s[52:53]
	v_add_f64 v[20:21], v[177:178], v[20:21]
	v_fma_f64 v[177:178], v[122:123], s[10:11], v[201:202]
	v_add_f64 v[191:192], v[203:204], v[191:192]
	v_fma_f64 v[203:204], v[137:138], s[24:25], -v[161:162]
	v_fma_f64 v[161:162], v[137:138], s[24:25], v[161:162]
	v_add_f64 v[175:176], v[177:178], v[175:176]
	v_mul_f64 v[177:178], v[143:144], s[48:49]
	v_add_f64 v[193:194], v[203:204], v[193:194]
	v_fma_f64 v[203:204], v[112:113], s[28:29], v[171:172]
	v_fma_f64 v[171:172], v[112:113], s[28:29], -v[171:172]
	v_add_f64 v[161:162], v[161:162], v[187:188]
	v_mul_f64 v[187:188], v[141:142], s[48:49]
	v_fma_f64 v[201:202], v[147:148], s[36:37], v[177:178]
	v_add_f64 v[173:174], v[203:204], v[173:174]
	v_fma_f64 v[203:204], v[149:150], s[28:29], -v[185:186]
	v_add_f64 v[163:164], v[171:172], v[163:164]
	v_mul_f64 v[171:172], v[127:128], s[16:17]
	v_add_f64 v[179:180], v[201:202], v[179:180]
	v_mul_f64 v[201:202], v[145:146], s[16:17]
	;; [unrolled: 2-line block ×3, first 2 shown]
	v_fma_f64 v[205:206], v[151:152], s[0:1], -v[203:204]
	v_add_f64 v[193:194], v[205:206], v[193:194]
	v_fma_f64 v[205:206], v[120:121], s[18:19], v[171:172]
	v_fma_f64 v[171:172], v[120:121], s[18:19], -v[171:172]
	v_add_f64 v[173:174], v[205:206], v[173:174]
	v_add_f64 v[163:164], v[171:172], v[163:164]
	v_fma_f64 v[171:172], v[108:109], s[24:25], v[4:5]
	v_fma_f64 v[4:5], v[108:109], s[24:25], -v[4:5]
	v_fma_f64 v[205:206], v[110:111], s[18:19], -v[201:202]
	v_add_f64 v[171:172], v[171:172], v[173:174]
	v_fma_f64 v[173:174], v[147:148], s[36:37], -v[177:178]
	v_add_f64 v[163:164], v[4:5], v[163:164]
	v_add_f64 v[191:192], v[205:206], v[191:192]
	v_fma_f64 v[205:206], v[122:123], s[36:37], -v[187:188]
	v_add_f64 v[20:21], v[173:174], v[20:21]
	v_fma_f64 v[173:174], v[149:150], s[28:29], v[185:186]
	v_add_f64 v[193:194], v[205:206], v[193:194]
	v_add_f64 v[173:174], v[173:174], v[175:176]
	v_mul_f64 v[175:176], v[129:130], s[22:23]
	v_fma_f64 v[177:178], v[112:113], s[20:21], v[175:176]
	v_fma_f64 v[4:5], v[112:113], s[20:21], -v[175:176]
	v_add_f64 v[177:178], v[177:178], v[179:180]
	v_mul_f64 v[179:180], v[106:107], s[46:47]
	v_add_f64 v[4:5], v[4:5], v[20:21]
	v_fma_f64 v[20:21], v[110:111], s[18:19], v[201:202]
	v_fma_f64 v[185:186], v[104:105], s[24:25], -v[179:180]
	v_add_f64 v[20:21], v[20:21], v[173:174]
	v_mul_f64 v[173:174], v[127:128], s[44:45]
	v_add_f64 v[185:186], v[185:186], v[191:192]
	v_fma_f64 v[191:192], v[151:152], s[0:1], v[203:204]
	v_fma_f64 v[175:176], v[120:121], s[10:11], v[173:174]
	v_fma_f64 v[173:174], v[120:121], s[10:11], -v[173:174]
	v_add_f64 v[161:162], v[191:192], v[161:162]
	v_mul_f64 v[191:192], v[155:156], s[22:23]
	v_add_f64 v[175:176], v[175:176], v[177:178]
	v_fma_f64 v[177:178], v[122:123], s[36:37], v[187:188]
	v_add_f64 v[4:5], v[173:174], v[4:5]
	v_fma_f64 v[173:174], v[149:150], s[20:21], v[191:192]
	v_fma_f64 v[203:204], v[149:150], s[20:21], -v[191:192]
	v_add_f64 v[161:162], v[177:178], v[161:162]
	v_mul_f64 v[177:178], v[145:146], s[44:45]
	v_add_f64 v[193:194], v[203:204], v[193:194]
	v_add_f64 v[161:162], v[173:174], v[161:162]
	v_mul_f64 v[173:174], v[133:134], s[40:41]
	v_mul_f64 v[133:134], v[133:134], s[50:51]
	v_fma_f64 v[187:188], v[110:111], s[10:11], -v[177:178]
	v_fma_f64 v[191:192], v[139:140], s[34:35], -v[173:174]
	v_fma_f64 v[173:174], v[139:140], s[34:35], v[173:174]
	v_add_f64 v[187:188], v[187:188], v[193:194]
	v_add_f64 v[181:182], v[191:192], v[181:182]
	v_fma_f64 v[191:192], v[139:140], s[20:21], -v[133:134]
	v_fma_f64 v[133:134], v[139:140], s[20:21], v[133:134]
	v_mul_f64 v[139:140], v[131:132], s[40:41]
	v_add_f64 v[22:23], v[173:174], v[22:23]
	v_mul_f64 v[173:174], v[135:136], s[26:27]
	v_mul_f64 v[135:136], v[135:136], s[52:53]
	;; [unrolled: 1-line block ×3, first 2 shown]
	v_add_f64 v[90:91], v[133:134], v[90:91]
	v_fma_f64 v[193:194], v[137:138], s[34:35], v[139:140]
	v_fma_f64 v[139:140], v[137:138], s[34:35], -v[139:140]
	v_mul_f64 v[133:134], v[114:115], s[26:27]
	v_mul_f64 v[114:115], v[114:115], s[52:53]
	v_fma_f64 v[201:202], v[137:138], s[20:21], v[131:132]
	v_fma_f64 v[131:132], v[137:138], s[20:21], -v[131:132]
	v_add_f64 v[137:138], v[191:192], v[183:184]
	v_add_f64 v[191:192], v[193:194], v[197:198]
	;; [unrolled: 1-line block ×3, first 2 shown]
	v_fma_f64 v[189:190], v[153:154], s[24:25], -v[173:174]
	v_fma_f64 v[173:174], v[153:154], s[24:25], v[173:174]
	v_fma_f64 v[193:194], v[151:152], s[28:29], v[114:115]
	v_fma_f64 v[114:115], v[151:152], s[28:29], -v[114:115]
	v_add_f64 v[88:89], v[131:132], v[88:89]
	v_add_f64 v[183:184], v[201:202], v[195:196]
	v_add_f64 v[181:182], v[189:190], v[181:182]
	v_fma_f64 v[189:190], v[153:154], s[28:29], -v[135:136]
	v_fma_f64 v[135:136], v[153:154], s[28:29], v[135:136]
	v_fma_f64 v[153:154], v[151:152], s[24:25], v[133:134]
	v_fma_f64 v[133:134], v[151:152], s[24:25], -v[133:134]
	v_add_f64 v[22:23], v[173:174], v[22:23]
	v_add_f64 v[88:89], v[114:115], v[88:89]
	;; [unrolled: 1-line block ×4, first 2 shown]
	v_mul_f64 v[135:136], v[141:142], s[2:3]
	v_add_f64 v[133:134], v[133:134], v[139:140]
	v_mul_f64 v[139:140], v[143:144], s[2:3]
	v_mul_f64 v[143:144], v[143:144], s[40:41]
	v_add_f64 v[151:152], v[153:154], v[191:192]
	v_mul_f64 v[141:142], v[141:142], s[40:41]
	v_add_f64 v[137:138], v[193:194], v[183:184]
	v_fma_f64 v[153:154], v[147:148], s[0:1], -v[139:140]
	v_fma_f64 v[173:174], v[147:148], s[34:35], -v[143:144]
	v_fma_f64 v[139:140], v[147:148], s[0:1], v[139:140]
	v_fma_f64 v[143:144], v[147:148], s[34:35], v[143:144]
	;; [unrolled: 1-line block ×3, first 2 shown]
	v_fma_f64 v[135:136], v[122:123], s[0:1], -v[135:136]
	v_add_f64 v[153:154], v[153:154], v[181:182]
	v_add_f64 v[114:115], v[173:174], v[131:132]
	v_mul_f64 v[131:132], v[129:130], s[54:55]
	v_fma_f64 v[181:182], v[122:123], s[34:35], v[141:142]
	v_fma_f64 v[122:123], v[122:123], s[34:35], -v[141:142]
	v_mul_f64 v[129:130], v[129:130], s[38:39]
	v_add_f64 v[147:148], v[147:148], v[151:152]
	v_mul_f64 v[151:152], v[155:156], s[38:39]
	v_mul_f64 v[155:156], v[155:156], s[54:55]
	v_add_f64 v[22:23], v[139:140], v[22:23]
	v_mul_f64 v[139:140], v[127:128], s[48:49]
	v_add_f64 v[133:134], v[135:136], v[133:134]
	v_add_f64 v[90:91], v[143:144], v[90:91]
	v_mul_f64 v[127:128], v[127:128], s[26:27]
	v_fma_f64 v[141:142], v[112:113], s[18:19], -v[131:132]
	v_add_f64 v[137:138], v[181:182], v[137:138]
	v_fma_f64 v[131:132], v[112:113], s[18:19], v[131:132]
	v_fma_f64 v[135:136], v[112:113], s[36:37], -v[129:130]
	v_fma_f64 v[112:113], v[112:113], s[36:37], v[129:130]
	v_fma_f64 v[129:130], v[149:150], s[36:37], v[151:152]
	v_fma_f64 v[143:144], v[149:150], s[18:19], v[155:156]
	v_add_f64 v[88:89], v[122:123], v[88:89]
	v_mul_f64 v[122:123], v[125:126], s[40:41]
	v_add_f64 v[141:142], v[141:142], v[153:154]
	v_fma_f64 v[153:154], v[149:150], s[18:19], -v[155:156]
	v_fma_f64 v[149:150], v[149:150], s[36:37], -v[151:152]
	;; [unrolled: 1-line block ×3, first 2 shown]
	v_mul_f64 v[155:156], v[145:146], s[26:27]
	v_mul_f64 v[145:146], v[145:146], s[48:49]
	v_add_f64 v[129:130], v[129:130], v[137:138]
	v_add_f64 v[137:138], v[143:144], v[147:148]
	v_add_f64 v[22:23], v[131:132], v[22:23]
	v_fma_f64 v[139:140], v[120:121], s[36:37], v[139:140]
	v_add_f64 v[90:91], v[112:113], v[90:91]
	v_mul_f64 v[112:113], v[106:107], s[16:17]
	v_add_f64 v[114:115], v[135:136], v[114:115]
	v_mul_f64 v[135:136], v[125:126], s[30:31]
	v_mul_f64 v[125:126], v[125:126], s[16:17]
	v_add_f64 v[131:132], v[153:154], v[133:134]
	v_fma_f64 v[133:134], v[120:121], s[24:25], -v[127:128]
	v_add_f64 v[141:142], v[151:152], v[141:142]
	v_fma_f64 v[143:144], v[110:111], s[24:25], v[155:156]
	v_fma_f64 v[147:148], v[110:111], s[36:37], v[145:146]
	;; [unrolled: 1-line block ×3, first 2 shown]
	v_fma_f64 v[153:154], v[108:109], s[34:35], -v[122:123]
	v_fma_f64 v[120:121], v[120:121], s[24:25], v[127:128]
	v_fma_f64 v[127:128], v[110:111], s[36:37], -v[145:146]
	v_mul_f64 v[145:146], v[106:107], s[30:31]
	v_mul_f64 v[106:107], v[106:107], s[40:41]
	v_fma_f64 v[110:111], v[110:111], s[24:25], -v[155:156]
	v_add_f64 v[88:89], v[149:150], v[88:89]
	v_add_f64 v[22:23], v[139:140], v[22:23]
	v_fma_f64 v[139:140], v[104:105], s[18:19], v[112:113]
	v_fma_f64 v[173:174], v[108:109], s[28:29], -v[135:136]
	v_fma_f64 v[122:123], v[108:109], s[34:35], v[122:123]
	v_fma_f64 v[135:136], v[108:109], s[28:29], v[135:136]
	v_mul_f64 v[155:156], v[118:119], s[8:9]
	v_mul_f64 v[177:178], v[102:103], s[8:9]
	v_add_f64 v[114:115], v[133:134], v[114:115]
	v_add_f64 v[129:130], v[143:144], v[129:130]
	v_add_f64 v[133:134], v[147:148], v[137:138]
	v_add_f64 v[143:144], v[151:152], v[161:162]
	v_add_f64 v[149:150], v[153:154], v[4:5]
	v_fma_f64 v[153:154], v[104:105], s[24:25], v[179:180]
	v_add_f64 v[127:128], v[127:128], v[131:132]
	v_fma_f64 v[131:132], v[104:105], s[28:29], v[145:146]
	v_fma_f64 v[151:152], v[104:105], s[34:35], v[106:107]
	v_fma_f64 v[106:107], v[104:105], s[34:35], -v[106:107]
	v_fma_f64 v[145:146], v[104:105], s[28:29], -v[145:146]
	;; [unrolled: 1-line block ×3, first 2 shown]
	v_add_f64 v[88:89], v[110:111], v[88:89]
	v_mul_f64 v[137:138], v[118:119], s[26:27]
	v_fma_f64 v[147:148], v[108:109], s[18:19], -v[125:126]
	v_add_f64 v[141:142], v[173:174], v[141:142]
	v_fma_f64 v[108:109], v[108:109], s[18:19], v[125:126]
	v_mul_f64 v[125:126], v[118:119], s[22:23]
	v_add_f64 v[90:91], v[120:121], v[90:91]
	v_mul_f64 v[120:121], v[118:119], s[16:17]
	v_mul_f64 v[118:119], v[118:119], s[2:3]
	;; [unrolled: 1-line block ×6, first 2 shown]
	v_add_f64 v[129:130], v[139:140], v[129:130]
	v_fma_f64 v[181:182], v[100:101], s[10:11], v[177:178]
	v_add_f64 v[122:123], v[122:123], v[175:176]
	v_add_f64 v[135:136], v[135:136], v[22:23]
	v_add_f64 v[131:132], v[131:132], v[133:134]
	v_add_f64 v[133:134], v[151:152], v[143:144]
	v_add_f64 v[143:144], v[153:154], v[20:21]
	v_fma_f64 v[151:152], v[116:117], s[10:11], -v[155:156]
	v_add_f64 v[175:176], v[106:107], v[187:188]
	v_add_f64 v[191:192], v[104:105], v[88:89]
	;; [unrolled: 1-line block ×3, first 2 shown]
	buffer_load_dword v0, off, s[56:59], 0 offset:4 ; 4-byte Folded Reload
	v_add_f64 v[110:111], v[147:148], v[114:115]
	v_fma_f64 v[112:113], v[116:117], s[24:25], -v[137:138]
	v_fma_f64 v[20:21], v[116:117], s[20:21], -v[125:126]
	v_fma_f64 v[114:115], v[116:117], s[24:25], v[137:138]
	v_fma_f64 v[147:148], v[116:117], s[18:19], -v[120:121]
	v_fma_f64 v[153:154], v[116:117], s[0:1], -v[118:119]
	v_fma_f64 v[179:180], v[100:101], s[0:1], v[173:174]
	v_fma_f64 v[139:140], v[100:101], s[24:25], v[4:5]
	;; [unrolled: 1-line block ×4, first 2 shown]
	v_fma_f64 v[137:138], v[100:101], s[24:25], -v[4:5]
	v_fma_f64 v[125:126], v[116:117], s[20:21], v[125:126]
	v_fma_f64 v[161:162], v[100:101], s[20:21], -v[161:162]
	v_add_f64 v[127:128], v[145:146], v[127:128]
	v_fma_f64 v[120:121], v[116:117], s[18:19], v[120:121]
	v_fma_f64 v[145:146], v[116:117], s[10:11], v[155:156]
	;; [unrolled: 1-line block ×3, first 2 shown]
	v_fma_f64 v[116:117], v[100:101], s[18:19], -v[102:103]
	v_fma_f64 v[177:178], v[100:101], s[10:11], -v[177:178]
	v_add_f64 v[189:190], v[108:109], v[90:91]
	v_fma_f64 v[173:174], v[100:101], s[0:1], -v[173:174]
	v_add_f64 v[106:107], v[6:7], v[2:3]
	v_add_f64 v[90:91], v[151:152], v[141:142]
	;; [unrolled: 1-line block ×21, first 2 shown]
	s_waitcnt vmcnt(0)
	v_and_b32_e32 v0, 0xffff, v0
	v_lshl_add_u32 v0, v0, 4, v208
	ds_write_b128 v0, v[104:107]
	ds_write_b128 v0, v[100:103] offset:16
	ds_write_b128 v0, v[88:91] offset:32
	;; [unrolled: 1-line block ×16, first 2 shown]
.LBB0_13:
	s_or_b32 exec_lo, exec_lo, s33
	s_waitcnt lgkmcnt(0)
	s_barrier
	buffer_gl0_inv
	ds_read_b128 v[0:3], v166 offset:2448
	ds_read_b128 v[4:7], v166 offset:4896
	;; [unrolled: 1-line block ×7, first 2 shown]
	s_mov_b32 s0, 0xe8584caa
	s_mov_b32 s1, 0xbfebb67a
	;; [unrolled: 1-line block ×10, first 2 shown]
	s_waitcnt lgkmcnt(6)
	v_mul_f64 v[28:29], v[54:55], v[2:3]
	s_waitcnt lgkmcnt(5)
	v_mul_f64 v[30:31], v[42:43], v[6:7]
	v_mul_f64 v[54:55], v[54:55], v[0:1]
	v_mul_f64 v[42:43], v[42:43], v[4:5]
	s_waitcnt lgkmcnt(4)
	v_mul_f64 v[88:89], v[38:39], v[10:11]
	s_waitcnt lgkmcnt(3)
	v_mul_f64 v[90:91], v[34:35], v[14:15]
	v_mul_f64 v[38:39], v[38:39], v[8:9]
	v_mul_f64 v[34:35], v[34:35], v[12:13]
	;; [unrolled: 6-line block ×3, first 2 shown]
	v_fma_f64 v[28:29], v[52:53], v[0:1], v[28:29]
	v_fma_f64 v[30:31], v[40:41], v[4:5], v[30:31]
	v_fma_f64 v[52:53], v[52:53], v[2:3], -v[54:55]
	v_fma_f64 v[40:41], v[40:41], v[6:7], -v[42:43]
	v_fma_f64 v[8:9], v[36:37], v[8:9], v[88:89]
	v_fma_f64 v[12:13], v[32:33], v[12:13], v[90:91]
	v_fma_f64 v[10:11], v[36:37], v[10:11], -v[38:39]
	v_fma_f64 v[14:15], v[32:33], v[14:15], -v[34:35]
	;; [unrolled: 4-line block ×3, first 2 shown]
	ds_read_b128 v[0:3], v166
	ds_read_b128 v[4:7], v166 offset:816
	s_waitcnt lgkmcnt(0)
	s_barrier
	buffer_gl0_inv
	v_add_f64 v[32:33], v[28:29], v[30:31]
	v_add_f64 v[34:35], v[52:53], v[40:41]
	v_add_f64 v[48:49], v[52:53], -v[40:41]
	v_add_f64 v[36:37], v[8:9], v[12:13]
	v_add_f64 v[94:95], v[8:9], -v[12:13]
	v_add_f64 v[38:39], v[10:11], v[14:15]
	v_add_f64 v[88:89], v[24:25], v[16:17]
	;; [unrolled: 1-line block ×8, first 2 shown]
	v_add_f64 v[28:29], v[28:29], -v[30:31]
	v_add_f64 v[90:91], v[26:27], v[18:19]
	v_add_f64 v[92:93], v[10:11], -v[14:15]
	v_add_f64 v[96:97], v[18:19], -v[22:23]
	;; [unrolled: 1-line block ×3, first 2 shown]
	v_fma_f64 v[32:33], v[32:33], -0.5, v[0:1]
	v_fma_f64 v[34:35], v[34:35], -0.5, v[2:3]
	v_fma_f64 v[36:37], v[36:37], -0.5, v[4:5]
	v_fma_f64 v[38:39], v[38:39], -0.5, v[6:7]
	v_add_f64 v[8:9], v[88:89], v[20:21]
	v_fma_f64 v[42:43], v[42:43], -0.5, v[24:25]
	v_add_f64 v[0:1], v[46:47], v[30:31]
	v_fma_f64 v[44:45], v[44:45], -0.5, v[26:27]
	v_add_f64 v[2:3], v[50:51], v[40:41]
	v_add_f64 v[4:5], v[52:53], v[12:13]
	;; [unrolled: 1-line block ×4, first 2 shown]
	v_fma_f64 v[12:13], v[48:49], s[0:1], v[32:33]
	v_fma_f64 v[16:17], v[48:49], s[2:3], v[32:33]
	;; [unrolled: 1-line block ×12, first 2 shown]
	s_mov_b32 s2, 0xe8584cab
	ds_write_b128 v170, v[0:3]
	ds_write_b128 v170, v[12:15] offset:272
	ds_write_b128 v170, v[16:19] offset:544
	ds_write_b128 v169, v[4:7]
	ds_write_b128 v169, v[20:23] offset:272
	ds_write_b128 v169, v[24:27] offset:544
	;; [unrolled: 3-line block ×3, first 2 shown]
	s_waitcnt lgkmcnt(0)
	s_barrier
	buffer_gl0_inv
	ds_read_b128 v[0:3], v166 offset:816
	ds_read_b128 v[4:7], v166 offset:6528
	;; [unrolled: 1-line block ×8, first 2 shown]
	s_mov_b32 s0, s2
	s_waitcnt lgkmcnt(7)
	v_mul_f64 v[32:33], v[66:67], v[2:3]
	v_mul_f64 v[34:35], v[66:67], v[0:1]
	s_waitcnt lgkmcnt(6)
	v_mul_f64 v[36:37], v[74:75], v[6:7]
	v_mul_f64 v[38:39], v[74:75], v[4:5]
	;; [unrolled: 3-line block ×6, first 2 shown]
	v_fma_f64 v[32:33], v[64:65], v[0:1], v[32:33]
	v_fma_f64 v[34:35], v[64:65], v[2:3], -v[34:35]
	ds_read_b128 v[0:3], v166
	v_fma_f64 v[4:5], v[72:73], v[4:5], v[36:37]
	v_fma_f64 v[6:7], v[72:73], v[6:7], -v[38:39]
	v_fma_f64 v[8:9], v[68:69], v[8:9], v[40:41]
	v_fma_f64 v[10:11], v[68:69], v[10:11], -v[42:43]
	;; [unrolled: 2-line block ×5, first 2 shown]
	s_waitcnt lgkmcnt(2)
	v_mul_f64 v[36:37], v[62:63], v[26:27]
	v_mul_f64 v[38:39], v[62:63], v[24:25]
	s_waitcnt lgkmcnt(1)
	v_mul_f64 v[40:41], v[58:59], v[30:31]
	v_mul_f64 v[42:43], v[58:59], v[28:29]
	v_add_f64 v[44:45], v[32:33], -v[4:5]
	v_add_f64 v[46:47], v[34:35], -v[6:7]
	v_add_f64 v[4:5], v[32:33], v[4:5]
	v_add_f64 v[6:7], v[34:35], v[6:7]
	;; [unrolled: 1-line block ×4, first 2 shown]
	v_add_f64 v[48:49], v[8:9], -v[12:13]
	v_add_f64 v[50:51], v[10:11], -v[14:15]
	v_add_f64 v[52:53], v[16:17], v[20:21]
	v_add_f64 v[54:55], v[18:19], v[22:23]
	v_fma_f64 v[24:25], v[60:61], v[24:25], v[36:37]
	v_fma_f64 v[26:27], v[60:61], v[26:27], -v[38:39]
	v_fma_f64 v[28:29], v[56:57], v[28:29], v[40:41]
	v_fma_f64 v[30:31], v[56:57], v[30:31], -v[42:43]
	v_add_f64 v[16:17], v[16:17], -v[20:21]
	v_add_f64 v[18:19], v[18:19], -v[22:23]
	v_mul_f64 v[20:21], v[44:45], s[8:9]
	v_mul_f64 v[22:23], v[46:47], s[8:9]
	s_waitcnt lgkmcnt(0)
	v_fma_f64 v[36:37], v[4:5], s[16:17], v[0:1]
	v_fma_f64 v[38:39], v[6:7], s[16:17], v[2:3]
	s_mov_b32 s9, 0xbfe491b7
	v_fma_f64 v[40:41], v[32:33], s[16:17], v[0:1]
	v_fma_f64 v[42:43], v[34:35], s[16:17], v[2:3]
	v_mul_f64 v[56:57], v[48:49], s[10:11]
	v_mul_f64 v[58:59], v[50:51], s[10:11]
	v_fma_f64 v[60:61], v[52:53], s[16:17], v[0:1]
	v_fma_f64 v[62:63], v[54:55], s[16:17], v[2:3]
	v_mul_f64 v[64:65], v[50:51], s[8:9]
	v_mul_f64 v[66:67], v[48:49], s[8:9]
	v_add_f64 v[68:69], v[24:25], v[28:29]
	v_add_f64 v[70:71], v[26:27], v[30:31]
	;; [unrolled: 1-line block ×4, first 2 shown]
	s_mov_b32 s16, 0x7e0b738b
	s_mov_b32 s17, 0x3fc63a1a
	v_add_f64 v[24:25], v[24:25], -v[28:29]
	v_add_f64 v[26:27], v[26:27], -v[30:31]
	v_fma_f64 v[20:21], v[16:17], s[10:11], v[20:21]
	v_fma_f64 v[22:23], v[18:19], s[10:11], v[22:23]
	;; [unrolled: 1-line block ×6, first 2 shown]
	v_fma_f64 v[40:41], v[16:17], s[8:9], -v[56:57]
	v_fma_f64 v[42:43], v[18:19], s[8:9], -v[58:59]
	v_fma_f64 v[56:57], v[32:33], s[16:17], v[60:61]
	v_fma_f64 v[58:59], v[34:35], s[16:17], v[62:63]
	;; [unrolled: 1-line block ×4, first 2 shown]
	v_add_f64 v[64:65], v[48:49], v[44:45]
	v_add_f64 v[66:67], v[50:51], v[46:47]
	v_add_f64 v[80:81], v[32:33], v[72:73]
	v_add_f64 v[82:83], v[34:35], v[74:75]
	v_add_f64 v[72:73], v[68:69], v[72:73]
	v_add_f64 v[74:75], v[70:71], v[74:75]
	v_add_f64 v[76:77], v[0:1], v[68:69]
	v_add_f64 v[78:79], v[2:3], v[70:71]
	s_mov_b32 s8, 0x748a0bf8
	v_fma_f64 v[20:21], v[24:25], s[2:3], v[20:21]
	v_fma_f64 v[22:23], v[26:27], s[2:3], v[22:23]
	v_fma_f64 v[28:29], v[68:69], -0.5, v[28:29]
	v_fma_f64 v[30:31], v[70:71], -0.5, v[30:31]
	s_mov_b32 s10, 0x42522d1b
	v_fma_f64 v[36:37], v[68:69], -0.5, v[36:37]
	v_fma_f64 v[38:39], v[70:71], -0.5, v[38:39]
	v_fma_f64 v[40:41], v[24:25], s[2:3], v[40:41]
	v_fma_f64 v[42:43], v[26:27], s[2:3], v[42:43]
	v_fma_f64 v[56:57], v[68:69], -0.5, v[56:57]
	v_fma_f64 v[58:59], v[70:71], -0.5, v[58:59]
	v_fma_f64 v[26:27], v[26:27], s[0:1], v[60:61]
	v_fma_f64 v[24:25], v[24:25], s[0:1], v[62:63]
	s_mov_b32 s9, 0x3fd5e3a8
	s_mov_b32 s11, 0xbfee11f6
	v_add_f64 v[60:61], v[64:65], -v[16:17]
	v_add_f64 v[62:63], v[66:67], -v[18:19]
	v_add_f64 v[8:9], v[8:9], v[72:73]
	v_add_f64 v[10:11], v[10:11], v[74:75]
	v_fma_f64 v[64:65], v[80:81], -0.5, v[76:77]
	v_fma_f64 v[66:67], v[82:83], -0.5, v[78:79]
	v_fma_f64 v[48:49], v[48:49], s[8:9], v[20:21]
	v_fma_f64 v[50:51], v[50:51], s[8:9], v[22:23]
	;; [unrolled: 1-line block ×12, first 2 shown]
	v_mul_f64 v[24:25], v[60:61], s[2:3]
	v_mul_f64 v[26:27], v[62:63], s[2:3]
	v_add_f64 v[44:45], v[12:13], v[8:9]
	v_add_f64 v[46:47], v[14:15], v[10:11]
	v_fma_f64 v[4:5], v[62:63], s[0:1], v[64:65]
	v_fma_f64 v[6:7], v[60:61], s[2:3], v[66:67]
	v_add_f64 v[8:9], v[20:21], -v[50:51]
	v_add_f64 v[10:11], v[48:49], v[22:23]
	v_add_f64 v[12:13], v[36:37], -v[34:35]
	v_add_f64 v[14:15], v[32:33], v[38:39]
	;; [unrolled: 2-line block ×3, first 2 shown]
	v_add_f64 v[0:1], v[0:1], v[44:45]
	v_add_f64 v[2:3], v[2:3], v[46:47]
	v_fma_f64 v[20:21], v[26:27], 2.0, v[4:5]
	v_fma_f64 v[22:23], v[24:25], -2.0, v[6:7]
	v_fma_f64 v[24:25], v[50:51], 2.0, v[8:9]
	v_fma_f64 v[26:27], v[48:49], -2.0, v[10:11]
	;; [unrolled: 2-line block ×4, first 2 shown]
	ds_write_b128 v167, v[0:3]
	ds_write_b128 v165, v[8:11] offset:816
	ds_write_b128 v165, v[4:7] offset:2448
	ds_write_b128 v165, v[12:15] offset:3264
	ds_write_b128 v165, v[20:23] offset:4896
	ds_write_b128 v165, v[16:19] offset:1632
	ds_write_b128 v165, v[28:31] offset:4080
	ds_write_b128 v165, v[24:27] offset:6528
	ds_write_b128 v165, v[32:35] offset:5712
	s_waitcnt lgkmcnt(0)
	s_barrier
	buffer_gl0_inv
	s_and_b32 exec_lo, exec_lo, vcc_lo
	s_cbranch_execz .LBB0_15
; %bb.14:
	v_lshlrev_b32_e32 v18, 4, v207
	v_mad_u64_u32 v[14:15], null, s6, v124, 0
	s_mov_b32 s0, 0x672e4abd
	s_mov_b32 s1, 0x3f61d8f5
	global_load_dwordx4 v[0:3], v18, s[12:13]
	ds_read_b128 v[4:7], v167
	ds_read_b128 v[8:11], v165 offset:432
	s_mul_i32 s2, s5, 0x1b0
	s_mul_i32 s3, s4, 0x1b0
	s_waitcnt vmcnt(0) lgkmcnt(1)
	v_mul_f64 v[12:13], v[6:7], v[2:3]
	v_mul_f64 v[2:3], v[4:5], v[2:3]
	v_fma_f64 v[4:5], v[4:5], v[0:1], v[12:13]
	v_fma_f64 v[2:3], v[0:1], v[6:7], -v[2:3]
	v_mad_u64_u32 v[6:7], null, s4, v207, 0
	v_mov_b32_e32 v0, v15
	v_mov_b32_e32 v1, v7
	v_mad_u64_u32 v[12:13], null, s7, v124, v[0:1]
	v_mov_b32_e32 v15, v12
	v_mad_u64_u32 v[16:17], null, s5, v207, v[1:2]
	v_mul_f64 v[0:1], v[4:5], s[0:1]
	v_mul_f64 v[2:3], v[2:3], s[0:1]
	v_lshlrev_b64 v[4:5], 4, v[14:15]
	s_mul_hi_u32 s5, s4, 0x1b0
	s_add_i32 s2, s5, s2
	v_mov_b32_e32 v7, v16
	v_add_co_u32 v4, vcc_lo, s14, v4
	v_add_co_ci_u32_e32 v5, vcc_lo, s15, v5, vcc_lo
	v_lshlrev_b64 v[6:7], 4, v[6:7]
	v_add_co_u32 v4, vcc_lo, v4, v6
	v_add_co_ci_u32_e32 v5, vcc_lo, v5, v7, vcc_lo
	v_add_co_u32 v12, vcc_lo, v4, s3
	global_store_dwordx4 v[4:5], v[0:3], off
	global_load_dwordx4 v[0:3], v18, s[12:13] offset:432
	v_add_co_ci_u32_e32 v13, vcc_lo, s2, v5, vcc_lo
	s_waitcnt vmcnt(0) lgkmcnt(0)
	v_mul_f64 v[6:7], v[10:11], v[2:3]
	v_mul_f64 v[2:3], v[8:9], v[2:3]
	v_fma_f64 v[6:7], v[8:9], v[0:1], v[6:7]
	v_fma_f64 v[2:3], v[0:1], v[10:11], -v[2:3]
	v_mul_f64 v[0:1], v[6:7], s[0:1]
	v_mul_f64 v[2:3], v[2:3], s[0:1]
	global_store_dwordx4 v[12:13], v[0:3], off
	global_load_dwordx4 v[0:3], v18, s[12:13] offset:864
	ds_read_b128 v[4:7], v165 offset:864
	ds_read_b128 v[8:11], v165 offset:1296
	s_waitcnt vmcnt(0) lgkmcnt(1)
	v_mul_f64 v[14:15], v[6:7], v[2:3]
	v_mul_f64 v[2:3], v[4:5], v[2:3]
	v_fma_f64 v[4:5], v[4:5], v[0:1], v[14:15]
	v_fma_f64 v[2:3], v[0:1], v[6:7], -v[2:3]
	v_mul_f64 v[0:1], v[4:5], s[0:1]
	v_mul_f64 v[2:3], v[2:3], s[0:1]
	v_add_co_u32 v4, vcc_lo, v12, s3
	v_add_co_ci_u32_e32 v5, vcc_lo, s2, v13, vcc_lo
	v_add_co_u32 v12, vcc_lo, v4, s3
	v_add_co_ci_u32_e32 v13, vcc_lo, s2, v5, vcc_lo
	global_store_dwordx4 v[4:5], v[0:3], off
	global_load_dwordx4 v[0:3], v18, s[12:13] offset:1296
	s_waitcnt vmcnt(0) lgkmcnt(0)
	v_mul_f64 v[6:7], v[10:11], v[2:3]
	v_mul_f64 v[2:3], v[8:9], v[2:3]
	v_fma_f64 v[6:7], v[8:9], v[0:1], v[6:7]
	v_fma_f64 v[2:3], v[0:1], v[10:11], -v[2:3]
	v_mul_f64 v[0:1], v[6:7], s[0:1]
	v_mul_f64 v[2:3], v[2:3], s[0:1]
	global_store_dwordx4 v[12:13], v[0:3], off
	global_load_dwordx4 v[0:3], v18, s[12:13] offset:1728
	ds_read_b128 v[4:7], v165 offset:1728
	ds_read_b128 v[8:11], v165 offset:2160
	v_add_co_u32 v18, s4, s12, v18
	v_add_co_ci_u32_e64 v19, null, s13, 0, s4
	s_waitcnt vmcnt(0) lgkmcnt(1)
	v_mul_f64 v[14:15], v[6:7], v[2:3]
	v_mul_f64 v[2:3], v[4:5], v[2:3]
	v_fma_f64 v[4:5], v[4:5], v[0:1], v[14:15]
	v_fma_f64 v[2:3], v[0:1], v[6:7], -v[2:3]
	v_mul_f64 v[0:1], v[4:5], s[0:1]
	v_mul_f64 v[2:3], v[2:3], s[0:1]
	v_add_co_u32 v4, vcc_lo, v12, s3
	v_add_co_ci_u32_e32 v5, vcc_lo, s2, v13, vcc_lo
	v_add_co_u32 v12, vcc_lo, 0x800, v18
	v_add_co_ci_u32_e32 v13, vcc_lo, 0, v19, vcc_lo
	;; [unrolled: 2-line block ×3, first 2 shown]
	global_store_dwordx4 v[4:5], v[0:3], off
	global_load_dwordx4 v[0:3], v[12:13], off offset:112
	s_waitcnt vmcnt(0) lgkmcnt(0)
	v_mul_f64 v[6:7], v[10:11], v[2:3]
	v_mul_f64 v[2:3], v[8:9], v[2:3]
	v_fma_f64 v[6:7], v[8:9], v[0:1], v[6:7]
	v_fma_f64 v[2:3], v[0:1], v[10:11], -v[2:3]
	v_mul_f64 v[0:1], v[6:7], s[0:1]
	v_mul_f64 v[2:3], v[2:3], s[0:1]
	global_store_dwordx4 v[14:15], v[0:3], off
	global_load_dwordx4 v[0:3], v[12:13], off offset:544
	ds_read_b128 v[4:7], v165 offset:2592
	ds_read_b128 v[8:11], v165 offset:3024
	s_waitcnt vmcnt(0) lgkmcnt(1)
	v_mul_f64 v[16:17], v[6:7], v[2:3]
	v_mul_f64 v[2:3], v[4:5], v[2:3]
	v_fma_f64 v[4:5], v[4:5], v[0:1], v[16:17]
	v_fma_f64 v[2:3], v[0:1], v[6:7], -v[2:3]
	v_mul_f64 v[0:1], v[4:5], s[0:1]
	v_mul_f64 v[2:3], v[2:3], s[0:1]
	v_add_co_u32 v4, vcc_lo, v14, s3
	v_add_co_ci_u32_e32 v5, vcc_lo, s2, v15, vcc_lo
	v_add_co_u32 v14, vcc_lo, v4, s3
	v_add_co_ci_u32_e32 v15, vcc_lo, s2, v5, vcc_lo
	global_store_dwordx4 v[4:5], v[0:3], off
	global_load_dwordx4 v[0:3], v[12:13], off offset:976
	s_waitcnt vmcnt(0) lgkmcnt(0)
	v_mul_f64 v[6:7], v[10:11], v[2:3]
	v_mul_f64 v[2:3], v[8:9], v[2:3]
	v_fma_f64 v[6:7], v[8:9], v[0:1], v[6:7]
	v_fma_f64 v[2:3], v[0:1], v[10:11], -v[2:3]
	v_mul_f64 v[0:1], v[6:7], s[0:1]
	v_mul_f64 v[2:3], v[2:3], s[0:1]
	global_store_dwordx4 v[14:15], v[0:3], off
	global_load_dwordx4 v[0:3], v[12:13], off offset:1408
	ds_read_b128 v[4:7], v165 offset:3456
	ds_read_b128 v[8:11], v165 offset:3888
	s_waitcnt vmcnt(0) lgkmcnt(1)
	v_mul_f64 v[16:17], v[6:7], v[2:3]
	v_mul_f64 v[2:3], v[4:5], v[2:3]
	v_fma_f64 v[4:5], v[4:5], v[0:1], v[16:17]
	v_fma_f64 v[2:3], v[0:1], v[6:7], -v[2:3]
	v_mul_f64 v[0:1], v[4:5], s[0:1]
	v_mul_f64 v[2:3], v[2:3], s[0:1]
	v_add_co_u32 v4, vcc_lo, v14, s3
	v_add_co_ci_u32_e32 v5, vcc_lo, s2, v15, vcc_lo
	global_store_dwordx4 v[4:5], v[0:3], off
	global_load_dwordx4 v[0:3], v[12:13], off offset:1840
	v_add_co_u32 v12, vcc_lo, v4, s3
	v_add_co_ci_u32_e32 v13, vcc_lo, s2, v5, vcc_lo
	v_add_co_u32 v14, vcc_lo, 0x1000, v18
	v_add_co_ci_u32_e32 v15, vcc_lo, 0, v19, vcc_lo
	s_waitcnt vmcnt(0) lgkmcnt(0)
	v_mul_f64 v[6:7], v[10:11], v[2:3]
	v_mul_f64 v[2:3], v[8:9], v[2:3]
	v_fma_f64 v[6:7], v[8:9], v[0:1], v[6:7]
	v_fma_f64 v[2:3], v[0:1], v[10:11], -v[2:3]
	v_mul_f64 v[0:1], v[6:7], s[0:1]
	v_mul_f64 v[2:3], v[2:3], s[0:1]
	global_store_dwordx4 v[12:13], v[0:3], off
	global_load_dwordx4 v[0:3], v[14:15], off offset:224
	ds_read_b128 v[4:7], v165 offset:4320
	ds_read_b128 v[8:11], v165 offset:4752
	s_waitcnt vmcnt(0) lgkmcnt(1)
	v_mul_f64 v[16:17], v[6:7], v[2:3]
	v_mul_f64 v[2:3], v[4:5], v[2:3]
	v_fma_f64 v[4:5], v[4:5], v[0:1], v[16:17]
	v_fma_f64 v[2:3], v[0:1], v[6:7], -v[2:3]
	v_mul_f64 v[0:1], v[4:5], s[0:1]
	v_mul_f64 v[2:3], v[2:3], s[0:1]
	v_add_co_u32 v4, vcc_lo, v12, s3
	v_add_co_ci_u32_e32 v5, vcc_lo, s2, v13, vcc_lo
	v_add_co_u32 v12, vcc_lo, v4, s3
	v_add_co_ci_u32_e32 v13, vcc_lo, s2, v5, vcc_lo
	global_store_dwordx4 v[4:5], v[0:3], off
	global_load_dwordx4 v[0:3], v[14:15], off offset:656
	s_waitcnt vmcnt(0) lgkmcnt(0)
	v_mul_f64 v[6:7], v[10:11], v[2:3]
	v_mul_f64 v[2:3], v[8:9], v[2:3]
	v_fma_f64 v[6:7], v[8:9], v[0:1], v[6:7]
	v_fma_f64 v[2:3], v[0:1], v[10:11], -v[2:3]
	v_mul_f64 v[0:1], v[6:7], s[0:1]
	v_mul_f64 v[2:3], v[2:3], s[0:1]
	global_store_dwordx4 v[12:13], v[0:3], off
	global_load_dwordx4 v[0:3], v[14:15], off offset:1088
	ds_read_b128 v[4:7], v165 offset:5184
	ds_read_b128 v[8:11], v165 offset:5616
	s_waitcnt vmcnt(0) lgkmcnt(1)
	v_mul_f64 v[16:17], v[6:7], v[2:3]
	v_mul_f64 v[2:3], v[4:5], v[2:3]
	v_fma_f64 v[4:5], v[4:5], v[0:1], v[16:17]
	v_fma_f64 v[2:3], v[0:1], v[6:7], -v[2:3]
	v_mul_f64 v[0:1], v[4:5], s[0:1]
	v_mul_f64 v[2:3], v[2:3], s[0:1]
	v_add_co_u32 v4, vcc_lo, v12, s3
	v_add_co_ci_u32_e32 v5, vcc_lo, s2, v13, vcc_lo
	v_add_co_u32 v12, vcc_lo, v4, s3
	v_add_co_ci_u32_e32 v13, vcc_lo, s2, v5, vcc_lo
	global_store_dwordx4 v[4:5], v[0:3], off
	global_load_dwordx4 v[0:3], v[14:15], off offset:1520
	;; [unrolled: 24-line block ×3, first 2 shown]
	s_waitcnt vmcnt(0) lgkmcnt(0)
	v_mul_f64 v[12:13], v[10:11], v[2:3]
	v_mul_f64 v[2:3], v[8:9], v[2:3]
	v_fma_f64 v[8:9], v[8:9], v[0:1], v[12:13]
	v_fma_f64 v[2:3], v[0:1], v[10:11], -v[2:3]
	v_mul_f64 v[0:1], v[8:9], s[0:1]
	v_mul_f64 v[2:3], v[2:3], s[0:1]
	v_add_co_u32 v8, vcc_lo, v4, s3
	v_add_co_ci_u32_e32 v9, vcc_lo, s2, v5, vcc_lo
	global_store_dwordx4 v[8:9], v[0:3], off
	global_load_dwordx4 v[0:3], v[6:7], off offset:768
	ds_read_b128 v[4:7], v165 offset:6912
	s_waitcnt vmcnt(0) lgkmcnt(0)
	v_mul_f64 v[10:11], v[6:7], v[2:3]
	v_mul_f64 v[2:3], v[4:5], v[2:3]
	v_fma_f64 v[4:5], v[4:5], v[0:1], v[10:11]
	v_fma_f64 v[2:3], v[0:1], v[6:7], -v[2:3]
	v_mul_f64 v[0:1], v[4:5], s[0:1]
	v_mul_f64 v[2:3], v[2:3], s[0:1]
	v_add_co_u32 v4, vcc_lo, v8, s3
	v_add_co_ci_u32_e32 v5, vcc_lo, s2, v9, vcc_lo
	global_store_dwordx4 v[4:5], v[0:3], off
.LBB0_15:
	s_endpgm
	.section	.rodata,"a",@progbits
	.p2align	6, 0x0
	.amdhsa_kernel bluestein_single_fwd_len459_dim1_dp_op_CI_CI
		.amdhsa_group_segment_fixed_size 36720
		.amdhsa_private_segment_fixed_size 580
		.amdhsa_kernarg_size 104
		.amdhsa_user_sgpr_count 6
		.amdhsa_user_sgpr_private_segment_buffer 1
		.amdhsa_user_sgpr_dispatch_ptr 0
		.amdhsa_user_sgpr_queue_ptr 0
		.amdhsa_user_sgpr_kernarg_segment_ptr 1
		.amdhsa_user_sgpr_dispatch_id 0
		.amdhsa_user_sgpr_flat_scratch_init 0
		.amdhsa_user_sgpr_private_segment_size 0
		.amdhsa_wavefront_size32 1
		.amdhsa_uses_dynamic_stack 0
		.amdhsa_system_sgpr_private_segment_wavefront_offset 1
		.amdhsa_system_sgpr_workgroup_id_x 1
		.amdhsa_system_sgpr_workgroup_id_y 0
		.amdhsa_system_sgpr_workgroup_id_z 0
		.amdhsa_system_sgpr_workgroup_info 0
		.amdhsa_system_vgpr_workitem_id 0
		.amdhsa_next_free_vgpr 256
		.amdhsa_next_free_sgpr 60
		.amdhsa_reserve_vcc 1
		.amdhsa_reserve_flat_scratch 0
		.amdhsa_float_round_mode_32 0
		.amdhsa_float_round_mode_16_64 0
		.amdhsa_float_denorm_mode_32 3
		.amdhsa_float_denorm_mode_16_64 3
		.amdhsa_dx10_clamp 1
		.amdhsa_ieee_mode 1
		.amdhsa_fp16_overflow 0
		.amdhsa_workgroup_processor_mode 1
		.amdhsa_memory_ordered 1
		.amdhsa_forward_progress 0
		.amdhsa_shared_vgpr_count 0
		.amdhsa_exception_fp_ieee_invalid_op 0
		.amdhsa_exception_fp_denorm_src 0
		.amdhsa_exception_fp_ieee_div_zero 0
		.amdhsa_exception_fp_ieee_overflow 0
		.amdhsa_exception_fp_ieee_underflow 0
		.amdhsa_exception_fp_ieee_inexact 0
		.amdhsa_exception_int_div_zero 0
	.end_amdhsa_kernel
	.text
.Lfunc_end0:
	.size	bluestein_single_fwd_len459_dim1_dp_op_CI_CI, .Lfunc_end0-bluestein_single_fwd_len459_dim1_dp_op_CI_CI
                                        ; -- End function
	.section	.AMDGPU.csdata,"",@progbits
; Kernel info:
; codeLenInByte = 25720
; NumSgprs: 62
; NumVgprs: 256
; ScratchSize: 580
; MemoryBound: 0
; FloatMode: 240
; IeeeMode: 1
; LDSByteSize: 36720 bytes/workgroup (compile time only)
; SGPRBlocks: 7
; VGPRBlocks: 31
; NumSGPRsForWavesPerEU: 62
; NumVGPRsForWavesPerEU: 256
; Occupancy: 4
; WaveLimiterHint : 1
; COMPUTE_PGM_RSRC2:SCRATCH_EN: 1
; COMPUTE_PGM_RSRC2:USER_SGPR: 6
; COMPUTE_PGM_RSRC2:TRAP_HANDLER: 0
; COMPUTE_PGM_RSRC2:TGID_X_EN: 1
; COMPUTE_PGM_RSRC2:TGID_Y_EN: 0
; COMPUTE_PGM_RSRC2:TGID_Z_EN: 0
; COMPUTE_PGM_RSRC2:TIDIG_COMP_CNT: 0
	.text
	.p2alignl 6, 3214868480
	.fill 48, 4, 3214868480
	.type	__hip_cuid_8a54a4d940bbf86c,@object ; @__hip_cuid_8a54a4d940bbf86c
	.section	.bss,"aw",@nobits
	.globl	__hip_cuid_8a54a4d940bbf86c
__hip_cuid_8a54a4d940bbf86c:
	.byte	0                               ; 0x0
	.size	__hip_cuid_8a54a4d940bbf86c, 1

	.ident	"AMD clang version 19.0.0git (https://github.com/RadeonOpenCompute/llvm-project roc-6.4.0 25133 c7fe45cf4b819c5991fe208aaa96edf142730f1d)"
	.section	".note.GNU-stack","",@progbits
	.addrsig
	.addrsig_sym __hip_cuid_8a54a4d940bbf86c
	.amdgpu_metadata
---
amdhsa.kernels:
  - .args:
      - .actual_access:  read_only
        .address_space:  global
        .offset:         0
        .size:           8
        .value_kind:     global_buffer
      - .actual_access:  read_only
        .address_space:  global
        .offset:         8
        .size:           8
        .value_kind:     global_buffer
      - .actual_access:  read_only
        .address_space:  global
        .offset:         16
        .size:           8
        .value_kind:     global_buffer
      - .actual_access:  read_only
        .address_space:  global
        .offset:         24
        .size:           8
        .value_kind:     global_buffer
      - .actual_access:  read_only
        .address_space:  global
        .offset:         32
        .size:           8
        .value_kind:     global_buffer
      - .offset:         40
        .size:           8
        .value_kind:     by_value
      - .address_space:  global
        .offset:         48
        .size:           8
        .value_kind:     global_buffer
      - .address_space:  global
        .offset:         56
        .size:           8
        .value_kind:     global_buffer
      - .address_space:  global
        .offset:         64
        .size:           8
        .value_kind:     global_buffer
      - .address_space:  global
        .offset:         72
        .size:           8
        .value_kind:     global_buffer
      - .offset:         80
        .size:           4
        .value_kind:     by_value
      - .address_space:  global
        .offset:         88
        .size:           8
        .value_kind:     global_buffer
      - .address_space:  global
        .offset:         96
        .size:           8
        .value_kind:     global_buffer
    .group_segment_fixed_size: 36720
    .kernarg_segment_align: 8
    .kernarg_segment_size: 104
    .language:       OpenCL C
    .language_version:
      - 2
      - 0
    .max_flat_workgroup_size: 255
    .name:           bluestein_single_fwd_len459_dim1_dp_op_CI_CI
    .private_segment_fixed_size: 580
    .sgpr_count:     62
    .sgpr_spill_count: 0
    .symbol:         bluestein_single_fwd_len459_dim1_dp_op_CI_CI.kd
    .uniform_work_group_size: 1
    .uses_dynamic_stack: false
    .vgpr_count:     256
    .vgpr_spill_count: 144
    .wavefront_size: 32
    .workgroup_processor_mode: 1
amdhsa.target:   amdgcn-amd-amdhsa--gfx1030
amdhsa.version:
  - 1
  - 2
...

	.end_amdgpu_metadata
